;; amdgpu-corpus repo=ROCm/rocFFT kind=compiled arch=gfx1201 opt=O3
	.text
	.amdgcn_target "amdgcn-amd-amdhsa--gfx1201"
	.amdhsa_code_object_version 6
	.protected	bluestein_single_fwd_len1440_dim1_half_op_CI_CI ; -- Begin function bluestein_single_fwd_len1440_dim1_half_op_CI_CI
	.globl	bluestein_single_fwd_len1440_dim1_half_op_CI_CI
	.p2align	8
	.type	bluestein_single_fwd_len1440_dim1_half_op_CI_CI,@function
bluestein_single_fwd_len1440_dim1_half_op_CI_CI: ; @bluestein_single_fwd_len1440_dim1_half_op_CI_CI
; %bb.0:
	s_load_b128 s[12:15], s[0:1], 0x28
	v_mul_u32_u24_e32 v1, 0x2d9, v0
	s_mov_b32 s2, exec_lo
	v_mov_b32_e32 v20, 0
	s_delay_alu instid0(VALU_DEP_2) | instskip(NEXT) | instid1(VALU_DEP_1)
	v_lshrrev_b32_e32 v1, 16, v1
	v_add_nc_u32_e32 v19, ttmp9, v1
	s_wait_kmcnt 0x0
	s_delay_alu instid0(VALU_DEP_1)
	v_cmpx_gt_u64_e64 s[12:13], v[19:20]
	s_cbranch_execz .LBB0_31
; %bb.1:
	s_clause 0x1
	s_load_b128 s[8:11], s[0:1], 0x18
	s_load_b64 s[12:13], s[0:1], 0x0
	v_mul_lo_u16 v1, 0x5a, v1
	s_delay_alu instid0(VALU_DEP_1) | instskip(NEXT) | instid1(VALU_DEP_1)
	v_sub_nc_u16 v14, v0, v1
	v_and_b32_e32 v17, 0xffff, v14
	s_delay_alu instid0(VALU_DEP_1)
	v_or_b32_e32 v65, 0x480, v17
	s_wait_kmcnt 0x0
	s_load_b128 s[4:7], s[8:9], 0x0
	s_wait_kmcnt 0x0
	v_mad_co_u64_u32 v[0:1], null, s6, v19, 0
	v_mad_co_u64_u32 v[2:3], null, s4, v17, 0
	;; [unrolled: 1-line block ×3, first 2 shown]
	s_mul_u64 s[2:3], s[4:5], 0x90
	s_delay_alu instid0(VALU_DEP_2) | instskip(NEXT) | instid1(VALU_DEP_2)
	v_mad_co_u64_u32 v[6:7], null, s7, v19, v[1:2]
	v_mad_co_u64_u32 v[7:8], null, s5, v17, v[3:4]
	s_load_b64 s[6:7], s[0:1], 0x38
	s_delay_alu instid0(VALU_DEP_2) | instskip(NEXT) | instid1(VALU_DEP_4)
	v_mov_b32_e32 v1, v6
	v_mad_co_u64_u32 v[5:6], null, s5, v65, v[5:6]
	s_delay_alu instid0(VALU_DEP_3) | instskip(NEXT) | instid1(VALU_DEP_3)
	v_mov_b32_e32 v3, v7
	v_lshlrev_b64_e32 v[0:1], 2, v[0:1]
	s_delay_alu instid0(VALU_DEP_2) | instskip(NEXT) | instid1(VALU_DEP_4)
	v_lshlrev_b64_e32 v[2:3], 2, v[2:3]
	v_lshlrev_b64_e32 v[4:5], 2, v[4:5]
	s_delay_alu instid0(VALU_DEP_3) | instskip(NEXT) | instid1(VALU_DEP_4)
	v_add_co_u32 v8, vcc_lo, s14, v0
	v_add_co_ci_u32_e32 v9, vcc_lo, s15, v1, vcc_lo
	s_lshl_b64 s[14:15], s[2:3], 2
	s_mov_b32 s2, 0
	s_delay_alu instid0(VALU_DEP_2)
	v_add_co_u32 v0, vcc_lo, v8, v2
	v_mov_b32_e32 v18, s2
	v_lshlrev_b32_e32 v64, 2, v17
	s_clause 0x7
	global_load_b32 v82, v64, s[12:13]
	global_load_b32 v81, v64, s[12:13] offset:576
	global_load_b32 v80, v64, s[12:13] offset:1152
	;; [unrolled: 1-line block ×7, first 2 shown]
	s_wait_alu 0xfffd
	v_add_co_ci_u32_e32 v1, vcc_lo, v9, v3, vcc_lo
	s_clause 0x1
	global_load_b32 v68, v64, s[12:13] offset:4608
	global_load_b32 v66, v64, s[12:13] offset:5184
	s_wait_alu 0xfffe
	v_add_co_u32 v2, vcc_lo, v0, s14
	s_wait_alu 0xfffd
	v_add_co_ci_u32_e32 v3, vcc_lo, s15, v1, vcc_lo
	global_load_b32 v20, v[0:1], off
	v_add_co_u32 v6, vcc_lo, v2, s14
	s_wait_alu 0xfffd
	v_add_co_ci_u32_e32 v7, vcc_lo, s15, v3, vcc_lo
	v_add_co_u32 v4, vcc_lo, v8, v4
	s_wait_alu 0xfffd
	v_add_co_ci_u32_e32 v5, vcc_lo, v9, v5, vcc_lo
	;; [unrolled: 3-line block ×3, first 2 shown]
	s_clause 0x1
	global_load_b32 v21, v[4:5], off
	global_load_b32 v23, v[6:7], off
	v_add_co_u32 v10, vcc_lo, v8, s14
	s_wait_alu 0xfffd
	v_add_co_ci_u32_e32 v11, vcc_lo, s15, v9, vcc_lo
	global_load_b32 v22, v[2:3], off
	v_add_co_u32 v4, vcc_lo, v10, s14
	s_wait_alu 0xfffd
	v_add_co_ci_u32_e32 v5, vcc_lo, s15, v11, vcc_lo
	s_clause 0x1
	global_load_b32 v8, v[8:9], off
	global_load_b32 v9, v[10:11], off
	v_add_co_u32 v2, vcc_lo, v4, s14
	s_wait_alu 0xfffd
	v_add_co_ci_u32_e32 v3, vcc_lo, s15, v5, vcc_lo
	v_add_co_u32 v15, s2, s12, v64
	s_delay_alu instid0(VALU_DEP_3) | instskip(SKIP_1) | instid1(VALU_DEP_3)
	v_add_co_u32 v12, vcc_lo, v2, s14
	s_wait_alu 0xfffd
	v_add_co_ci_u32_e32 v13, vcc_lo, s15, v3, vcc_lo
	s_wait_alu 0xf1ff
	v_add_co_ci_u32_e64 v16, null, s13, 0, s2
	v_cmp_gt_u16_e32 vcc_lo, 54, v14
	s_delay_alu instid0(VALU_DEP_3) | instskip(NEXT) | instid1(VALU_DEP_1)
	v_mad_co_u64_u32 v[0:1], null, 0x480, s4, v[12:13]
	v_mad_co_u64_u32 v[6:7], null, 0x480, s5, v[1:2]
	global_load_b32 v5, v[4:5], off
	global_load_b32 v7, v[2:3], off
	v_add_nc_u32_e32 v2, 0x400, v64
	v_add_nc_u32_e32 v4, 0xc00, v64
	;; [unrolled: 1-line block ×3, first 2 shown]
	v_mov_b32_e32 v1, v6
	global_load_b32 v6, v[12:13], off
	global_load_b32 v10, v[0:1], off
	s_load_b128 s[8:11], s[10:11], 0x0
	s_wait_loadcnt 0x13
	v_lshrrev_b32_e32 v85, 16, v82
	s_wait_loadcnt 0x12
	v_lshrrev_b32_e32 v84, 16, v81
	;; [unrolled: 2-line block ×11, first 2 shown]
	v_mul_f16_e32 v12, v85, v20
	s_delay_alu instid0(VALU_DEP_2) | instskip(NEXT) | instid1(VALU_DEP_2)
	v_mul_f16_e32 v25, v85, v11
	v_fma_f16 v11, v82, v11, -v12
	s_delay_alu instid0(VALU_DEP_2) | instskip(SKIP_3) | instid1(VALU_DEP_3)
	v_fmac_f16_e32 v25, v82, v20
	s_wait_loadcnt 0x8
	v_lshrrev_b32_e32 v13, 16, v21
	v_mul_f16_e32 v24, v69, v21
	v_pack_b32_f16 v11, v25, v11
	s_delay_alu instid0(VALU_DEP_3)
	v_mul_f16_e32 v27, v69, v13
	s_wait_loadcnt 0x6
	v_lshrrev_b32_e32 v12, 16, v22
	v_mul_f16_e32 v26, v84, v22
	v_fma_f16 v13, v68, v13, -v24
	v_lshrrev_b32_e32 v24, 16, v23
	v_fmac_f16_e32 v27, v68, v21
	v_mul_f16_e32 v20, v84, v12
	v_fma_f16 v12, v81, v12, -v26
	v_mul_f16_e32 v26, v83, v23
	v_mul_f16_e32 v21, v83, v24
	s_wait_loadcnt 0x5
	v_mul_f16_e32 v25, v79, v8
	v_fmac_f16_e32 v20, v81, v22
	v_pack_b32_f16 v13, v27, v13
	v_fma_f16 v22, v80, v24, -v26
	v_lshrrev_b32_e32 v24, 16, v8
	v_fmac_f16_e32 v21, v80, v23
	v_pack_b32_f16 v12, v20, v12
	s_delay_alu instid0(VALU_DEP_3)
	v_mul_f16_e32 v20, v79, v24
	v_fma_f16 v23, v78, v24, -v25
	s_wait_loadcnt 0x4
	v_lshrrev_b32_e32 v24, 16, v9
	ds_store_2addr_b32 v64, v11, v12 offset1:144
	v_pack_b32_f16 v11, v21, v22
	v_fmac_f16_e32 v20, v78, v8
	v_mul_f16_e32 v25, v77, v9
	v_mul_f16_e32 v12, v77, v24
	s_wait_loadcnt 0x3
	v_lshrrev_b32_e32 v8, 16, v5
	v_mul_f16_e32 v22, v75, v5
	v_pack_b32_f16 v20, v20, v23
	v_fmac_f16_e32 v12, v76, v9
	s_wait_loadcnt 0x2
	v_lshrrev_b32_e32 v9, 16, v7
	v_mul_f16_e32 v23, v75, v8
	v_fma_f16 v8, v74, v8, -v22
	v_mul_f16_e32 v22, v73, v7
	v_fma_f16 v21, v76, v24, -v25
	v_mul_f16_e32 v24, v73, v9
	v_fmac_f16_e32 v23, v74, v5
	s_wait_loadcnt 0x1
	v_lshrrev_b32_e32 v5, 16, v6
	s_wait_loadcnt 0x0
	v_lshrrev_b32_e32 v25, 16, v10
	v_fma_f16 v9, v72, v9, -v22
	v_mul_f16_e32 v22, v71, v6
	v_mul_f16_e32 v27, v67, v10
	;; [unrolled: 1-line block ×4, first 2 shown]
	v_fmac_f16_e32 v24, v72, v7
	v_fma_f16 v5, v70, v5, -v22
	v_pack_b32_f16 v7, v12, v21
	v_fmac_f16_e32 v26, v70, v6
	v_fma_f16 v6, v66, v25, -v27
	v_fmac_f16_e32 v28, v66, v10
	v_pack_b32_f16 v8, v23, v8
	v_pack_b32_f16 v9, v24, v9
	;; [unrolled: 1-line block ×3, first 2 shown]
	v_add_nc_u32_e32 v5, 0x1200, v64
	v_pack_b32_f16 v6, v28, v6
	ds_store_2addr_b32 v2, v11, v20 offset0:32 offset1:176
	ds_store_2addr_b32 v3, v7, v8 offset0:64 offset1:208
	;; [unrolled: 1-line block ×3, first 2 shown]
	ds_store_2addr_b32 v5, v13, v6 offset1:144
	s_and_saveexec_b32 s3, vcc_lo
	s_cbranch_execz .LBB0_3
; %bb.2:
	v_mad_co_u64_u32 v[0:1], null, 0xffffed28, s4, v[0:1]
	s_mul_i32 s2, s5, 0xffffed28
	s_wait_alu 0xfffe
	s_sub_co_i32 s2, s2, s4
	s_wait_alu 0xfffe
	s_delay_alu instid0(VALU_DEP_1)
	v_add_nc_u32_e32 v1, s2, v1
	global_load_b32 v10, v[0:1], off
	v_add_co_u32 v0, s2, v0, s14
	s_wait_alu 0xf1ff
	v_add_co_ci_u32_e64 v1, s2, s15, v1, s2
	s_clause 0x5
	global_load_b32 v11, v[15:16], off offset:360
	global_load_b32 v12, v[15:16], off offset:936
	;; [unrolled: 1-line block ×6, first 2 shown]
	v_add_co_u32 v6, s2, v0, s14
	s_wait_alu 0xf1ff
	v_add_co_ci_u32_e64 v7, s2, s15, v1, s2
	s_clause 0x2
	global_load_b32 v22, v[15:16], off offset:3816
	global_load_b32 v23, v[15:16], off offset:4392
	;; [unrolled: 1-line block ×3, first 2 shown]
	global_load_b32 v25, v[0:1], off
	global_load_b32 v26, v[15:16], off offset:5544
	global_load_b32 v27, v[6:7], off
	v_add_co_u32 v0, s2, v6, s14
	s_wait_alu 0xf1ff
	v_add_co_ci_u32_e64 v1, s2, s15, v7, s2
	s_delay_alu instid0(VALU_DEP_2) | instskip(SKIP_1) | instid1(VALU_DEP_2)
	v_add_co_u32 v6, s2, v0, s14
	s_wait_alu 0xf1ff
	v_add_co_ci_u32_e64 v7, s2, s15, v1, s2
	global_load_b32 v28, v[0:1], off
	v_add_co_u32 v0, s2, v6, s14
	s_wait_alu 0xf1ff
	v_add_co_ci_u32_e64 v1, s2, s15, v7, s2
	global_load_b32 v29, v[6:7], off
	;; [unrolled: 4-line block ×4, first 2 shown]
	v_add_co_u32 v6, s2, v0, s14
	s_wait_alu 0xf1ff
	v_add_co_ci_u32_e64 v7, s2, s15, v1, s2
	s_delay_alu instid0(VALU_DEP_2) | instskip(SKIP_1) | instid1(VALU_DEP_2)
	v_add_co_u32 v8, s2, v6, s14
	s_wait_alu 0xf1ff
	v_add_co_ci_u32_e64 v9, s2, s15, v7, s2
	global_load_b32 v0, v[0:1], off
	global_load_b32 v1, v[6:7], off
	;; [unrolled: 1-line block ×3, first 2 shown]
	v_add_nc_u32_e32 v7, 0x500, v64
	v_add_nc_u32_e32 v8, 0xa00, v64
	s_wait_loadcnt 0x12
	v_lshrrev_b32_e32 v9, 16, v11
	v_lshrrev_b32_e32 v37, 16, v10
	s_wait_loadcnt 0x11
	v_lshrrev_b32_e32 v32, 16, v12
	s_wait_loadcnt 0x10
	;; [unrolled: 2-line block ×3, first 2 shown]
	v_lshrrev_b32_e32 v34, 16, v14
	v_mul_f16_e32 v41, v9, v10
	v_mul_f16_e32 v9, v9, v37
	s_wait_loadcnt 0xe
	v_lshrrev_b32_e32 v35, 16, v20
	s_wait_loadcnt 0x9
	v_lshrrev_b32_e32 v42, 16, v25
	v_mul_f16_e32 v44, v32, v25
	v_fma_f16 v37, v11, v37, -v41
	v_fmac_f16_e32 v9, v11, v10
	s_wait_loadcnt 0x7
	v_lshrrev_b32_e32 v11, 16, v27
	v_mul_f16_e32 v10, v32, v42
	v_fma_f16 v32, v12, v42, -v44
	v_mul_f16_e32 v41, v33, v27
	v_lshrrev_b32_e32 v36, 16, v21
	v_lshrrev_b32_e32 v38, 16, v22
	v_fmac_f16_e32 v10, v12, v25
	v_mul_f16_e32 v12, v33, v11
	s_wait_loadcnt 0x6
	v_lshrrev_b32_e32 v25, 16, v28
	v_fma_f16 v11, v13, v11, -v41
	v_mul_f16_e32 v33, v34, v28
	v_pack_b32_f16 v10, v10, v32
	v_fmac_f16_e32 v12, v13, v27
	v_mul_f16_e32 v13, v34, v25
	s_wait_loadcnt 0x5
	v_lshrrev_b32_e32 v27, 16, v29
	v_fma_f16 v25, v14, v25, -v33
	v_mul_f16_e32 v32, v35, v29
	v_pack_b32_f16 v11, v12, v11
	;; [unrolled: 7-line block ×3, first 2 shown]
	v_fmac_f16_e32 v12, v20, v29
	v_mul_f16_e32 v20, v36, v14
	s_wait_loadcnt 0x3
	v_lshrrev_b32_e32 v25, 16, v31
	v_lshrrev_b32_e32 v39, 16, v23
	v_mul_f16_e32 v29, v38, v31
	v_fma_f16 v14, v21, v14, -v28
	v_fmac_f16_e32 v20, v21, v30
	v_mul_f16_e32 v21, v38, v25
	v_pack_b32_f16 v12, v12, v27
	s_wait_loadcnt 0x2
	v_lshrrev_b32_e32 v27, 16, v0
	v_lshrrev_b32_e32 v40, 16, v24
	;; [unrolled: 1-line block ×3, first 2 shown]
	v_fma_f16 v25, v22, v25, -v29
	v_mul_f16_e32 v28, v39, v0
	v_pack_b32_f16 v14, v20, v14
	v_fmac_f16_e32 v21, v22, v31
	s_wait_loadcnt 0x1
	v_lshrrev_b32_e32 v20, 16, v1
	s_wait_loadcnt 0x0
	v_lshrrev_b32_e32 v22, 16, v6
	v_mul_f16_e32 v29, v39, v27
	v_fma_f16 v27, v23, v27, -v28
	v_mul_f16_e32 v28, v40, v1
	v_mul_f16_e32 v30, v40, v20
	v_mul_f16_e32 v31, v43, v22
	v_mul_f16_e32 v32, v43, v6
	v_fmac_f16_e32 v29, v23, v0
	v_fma_f16 v0, v24, v20, -v28
	v_fmac_f16_e32 v30, v24, v1
	v_fmac_f16_e32 v31, v26, v6
	v_fma_f16 v1, v26, v22, -v32
	v_pack_b32_f16 v9, v9, v37
	v_pack_b32_f16 v6, v21, v25
	;; [unrolled: 1-line block ×3, first 2 shown]
	v_add_nc_u32_e32 v21, 0xe00, v64
	v_pack_b32_f16 v0, v30, v0
	v_pack_b32_f16 v1, v31, v1
	ds_store_2addr_b32 v64, v9, v10 offset0:90 offset1:234
	ds_store_2addr_b32 v7, v11, v13 offset0:58 offset1:202
	;; [unrolled: 1-line block ×5, first 2 shown]
.LBB0_3:
	s_wait_alu 0xfffe
	s_or_b32 exec_lo, exec_lo, s3
	global_wb scope:SCOPE_SE
	s_wait_dscnt 0x0
	s_wait_kmcnt 0x0
	s_barrier_signal -1
	s_barrier_wait -1
	global_inv scope:SCOPE_SE
	ds_load_2addr_b32 v[24:25], v64 offset1:144
	ds_load_2addr_b32 v[20:21], v2 offset0:32 offset1:176
	ds_load_2addr_b32 v[22:23], v3 offset0:64 offset1:208
	;; [unrolled: 1-line block ×3, first 2 shown]
	ds_load_2addr_b32 v[10:11], v5 offset1:144
                                        ; implicit-def: $vgpr1
                                        ; implicit-def: $vgpr3
                                        ; implicit-def: $vgpr5
                                        ; implicit-def: $vgpr9
                                        ; implicit-def: $vgpr7
	s_and_saveexec_b32 s2, vcc_lo
	s_cbranch_execz .LBB0_5
; %bb.4:
	v_add_nc_u32_e32 v0, 0x500, v64
	v_add_nc_u32_e32 v1, 0xa00, v64
	;; [unrolled: 1-line block ×4, first 2 shown]
	ds_load_2addr_b32 v[6:7], v64 offset0:90 offset1:234
	ds_load_2addr_b32 v[8:9], v0 offset0:58 offset1:202
	;; [unrolled: 1-line block ×5, first 2 shown]
.LBB0_5:
	s_wait_alu 0xfffe
	s_or_b32 exec_lo, exec_lo, s2
	s_wait_dscnt 0x1
	v_add_f16_e32 v14, v22, v12
	v_lshrrev_b32_e32 v27, 16, v20
	s_wait_dscnt 0x0
	v_lshrrev_b32_e32 v28, 16, v10
	v_lshrrev_b32_e32 v29, 16, v22
	v_lshrrev_b32_e32 v30, 16, v12
	v_fma_f16 v31, -0.5, v14, v24
	v_sub_f16_e32 v26, v10, v12
	v_sub_f16_e32 v14, v27, v28
	;; [unrolled: 1-line block ×6, first 2 shown]
	v_fmamk_f16 v34, v14, 0x3b9c, v31
	v_fmac_f16_e32 v31, 0xbb9c, v14
	v_add_f16_e32 v32, v32, v26
	v_add_f16_e32 v35, v20, v10
	;; [unrolled: 1-line block ×3, first 2 shown]
	v_fmac_f16_e32 v34, 0x38b4, v33
	v_fmac_f16_e32 v31, 0xb8b4, v33
	v_lshrrev_b32_e32 v37, 16, v24
	v_pk_add_f16 v40, v24, v20
	v_fma_f16 v35, -0.5, v35, v24
	v_fmac_f16_e32 v34, 0x34f2, v32
	v_fmac_f16_e32 v31, 0x34f2, v32
	v_add_f16_e32 v32, v39, v38
	v_add_f16_e32 v38, v27, v28
	v_fma_f16 v36, -0.5, v36, v37
	v_sub_f16_e32 v20, v20, v10
	v_sub_f16_e32 v39, v22, v12
	v_fmamk_f16 v24, v33, 0xbb9c, v35
	v_fmac_f16_e32 v37, -0.5, v38
	v_fmac_f16_e32 v35, 0x3b9c, v33
	v_fmamk_f16 v33, v20, 0xbb9c, v36
	v_sub_f16_e32 v41, v27, v29
	v_sub_f16_e32 v42, v28, v30
	v_fmac_f16_e32 v36, 0x3b9c, v20
	v_fmamk_f16 v38, v39, 0x3b9c, v37
	v_sub_f16_e32 v27, v29, v27
	v_sub_f16_e32 v28, v30, v28
	v_fmac_f16_e32 v37, 0xbb9c, v39
	v_fmac_f16_e32 v24, 0x38b4, v14
	;; [unrolled: 1-line block ×4, first 2 shown]
	v_add_f16_e32 v14, v41, v42
	v_fmac_f16_e32 v36, 0x38b4, v39
	v_fmac_f16_e32 v38, 0xb8b4, v20
	v_add_f16_e32 v27, v27, v28
	v_fmac_f16_e32 v37, 0x38b4, v20
	v_fmac_f16_e32 v24, 0x34f2, v32
	;; [unrolled: 1-line block ×5, first 2 shown]
	v_add_f16_e32 v14, v23, v13
	v_lshrrev_b32_e32 v32, 16, v21
	v_lshrrev_b32_e32 v41, 16, v11
	;; [unrolled: 1-line block ×4, first 2 shown]
	v_add_f16_e32 v20, v21, v11
	v_fmac_f16_e32 v38, 0x34f2, v27
	v_fmac_f16_e32 v37, 0x34f2, v27
	v_sub_f16_e32 v27, v11, v13
	v_sub_f16_e32 v44, v21, v23
	;; [unrolled: 1-line block ×4, first 2 shown]
	v_fma_f16 v14, -0.5, v14, v25
	v_sub_f16_e32 v29, v32, v41
	v_sub_f16_e32 v42, v30, v39
	v_fma_f16 v20, -0.5, v20, v25
	v_pk_add_f16 v43, v25, v21
	v_add_f16_e32 v48, v30, v39
	v_lshrrev_b32_e32 v25, 16, v25
	v_add_f16_e32 v27, v44, v27
	v_add_f16_e32 v44, v47, v46
	;; [unrolled: 1-line block ×3, first 2 shown]
	v_fmamk_f16 v28, v29, 0x3b9c, v14
	v_fmamk_f16 v45, v42, 0xbb9c, v20
	v_fmac_f16_e32 v14, 0xbb9c, v29
	v_fma_f16 v46, -0.5, v48, v25
	v_sub_f16_e32 v21, v21, v11
	v_sub_f16_e32 v49, v23, v13
	v_fmac_f16_e32 v25, -0.5, v47
	v_fmac_f16_e32 v20, 0x3b9c, v42
	v_fmac_f16_e32 v28, 0x38b4, v42
	;; [unrolled: 1-line block ×3, first 2 shown]
	v_fmamk_f16 v48, v21, 0xbb9c, v46
	v_sub_f16_e32 v42, v32, v30
	v_sub_f16_e32 v47, v41, v39
	v_fmamk_f16 v50, v49, 0x3b9c, v25
	v_sub_f16_e32 v30, v30, v32
	v_sub_f16_e32 v32, v39, v41
	v_fmac_f16_e32 v20, 0xb8b4, v29
	v_fmac_f16_e32 v25, 0xbb9c, v49
	;; [unrolled: 1-line block ×6, first 2 shown]
	v_add_f16_e32 v39, v42, v47
	v_fmac_f16_e32 v50, 0xb8b4, v21
	v_add_f16_e32 v29, v30, v32
	v_fmac_f16_e32 v25, 0x38b4, v21
	v_fmac_f16_e32 v20, 0x34f2, v44
	;; [unrolled: 1-line block ×4, first 2 shown]
	v_mul_f16_e32 v21, 0x3a79, v28
	v_fmac_f16_e32 v50, 0x34f2, v29
	v_fmac_f16_e32 v25, 0x34f2, v29
	v_mul_f16_e32 v30, 0x34f2, v20
	v_fmac_f16_e32 v14, 0x34f2, v27
	v_fmac_f16_e32 v46, 0x34f2, v39
	;; [unrolled: 3-line block ×3, first 2 shown]
	v_mul_f16_e32 v29, 0x3b9c, v50
	v_fma_f16 v27, v25, 0x3b9c, -v30
	v_mul_f16_e32 v30, 0x3a79, v14
	v_fmac_f16_e32 v28, 0x3a79, v48
	v_mul_f16_e32 v25, 0x34f2, v25
	v_mul_f16_e32 v39, 0x3a79, v46
	v_add_f16_e32 v41, v34, v21
	v_fmac_f16_e32 v29, 0x34f2, v45
	v_mul_f16_e32 v32, 0xbb9c, v45
	v_fma_f16 v30, v46, 0x38b4, -v30
	v_add_f16_e32 v46, v33, v28
	v_fma_f16 v20, v20, 0xbb9c, -v25
	v_fma_f16 v25, v14, 0xb8b4, -v39
	v_add_f16_e32 v14, v2, v4
	v_lshrrev_b32_e32 v39, 16, v0
	v_lshrrev_b32_e32 v48, 16, v8
	v_sub_f16_e32 v51, v34, v21
	v_lshrrev_b32_e32 v34, 16, v2
	v_lshrrev_b32_e32 v52, 16, v4
	v_sub_f16_e32 v60, v33, v28
	v_add_f16_e32 v28, v0, v8
	v_add_f16_e32 v42, v24, v29
	;; [unrolled: 1-line block ×3, first 2 shown]
	v_fmac_f16_e32 v32, 0x34f2, v50
	v_add_f16_e32 v45, v31, v30
	v_add_f16_e32 v50, v36, v25
	v_fma_f16 v14, -0.5, v14, v6
	v_sub_f16_e32 v21, v48, v39
	v_sub_f16_e32 v53, v24, v29
	;; [unrolled: 1-line block ×8, first 2 shown]
	v_fma_f16 v25, -0.5, v28, v6
	v_fmamk_f16 v24, v21, 0x3b9c, v14
	v_fmac_f16_e32 v14, 0xbb9c, v21
	v_add_f16_e32 v31, v29, v27
	v_add_f16_e32 v47, v38, v32
	v_fmamk_f16 v27, v30, 0xbb9c, v25
	v_fmac_f16_e32 v25, 0x3b9c, v30
	v_add_f16_e32 v49, v37, v20
	v_sub_f16_e32 v61, v38, v32
	v_fmac_f16_e32 v24, 0x38b4, v30
	v_sub_f16_e32 v63, v37, v20
	v_fmac_f16_e32 v14, 0xb8b4, v30
	v_add_f16_e32 v20, v34, v52
	v_lshrrev_b32_e32 v29, 16, v6
	v_sub_f16_e32 v28, v4, v8
	v_sub_f16_e32 v32, v2, v0
	v_fmac_f16_e32 v27, 0x38b4, v21
	v_fmac_f16_e32 v25, 0xb8b4, v21
	v_add_f16_e32 v21, v39, v48
	v_fmac_f16_e32 v24, 0x34f2, v31
	v_fma_f16 v30, -0.5, v20, v29
	v_fmac_f16_e32 v14, 0x34f2, v31
	v_add_f16_e32 v31, v32, v28
	v_sub_f16_e32 v32, v4, v2
	v_fmac_f16_e32 v29, -0.5, v21
	v_sub_f16_e32 v20, v8, v0
	v_sub_f16_e32 v33, v48, v52
	;; [unrolled: 1-line block ×3, first 2 shown]
	v_fmac_f16_e32 v27, 0x34f2, v31
	v_fmac_f16_e32 v25, 0x34f2, v31
	v_fmamk_f16 v31, v32, 0x3b9c, v29
	v_sub_f16_e32 v48, v52, v48
	v_sub_f16_e32 v34, v34, v39
	v_fmac_f16_e32 v29, 0xbb9c, v32
	v_sub_f16_e32 v52, v9, v5
	v_fmac_f16_e32 v31, 0xb8b4, v20
	v_sub_f16_e32 v55, v1, v3
	v_add_f16_e32 v34, v34, v48
	v_fmac_f16_e32 v29, 0x38b4, v20
	v_fmamk_f16 v28, v20, 0xbb9c, v30
	v_add_f16_e32 v21, v35, v33
	v_fmac_f16_e32 v30, 0x3b9c, v20
	v_add_f16_e32 v33, v3, v5
	v_lshrrev_b32_e32 v35, 16, v1
	v_lshrrev_b32_e32 v36, 16, v9
	;; [unrolled: 1-line block ×4, first 2 shown]
	v_add_f16_e32 v56, v1, v9
	v_add_f16_e32 v20, v55, v52
	v_fmac_f16_e32 v31, 0x34f2, v34
	v_fmac_f16_e32 v29, 0x34f2, v34
	v_sub_f16_e32 v34, v5, v9
	v_sub_f16_e32 v52, v3, v1
	v_fma_f16 v54, -0.5, v33, v7
	v_sub_f16_e32 v33, v36, v35
	v_fma_f16 v48, -0.5, v56, v7
	v_add_f16_e32 v55, v37, v38
	v_lshrrev_b32_e32 v56, 16, v7
	v_add_f16_e32 v34, v52, v34
	v_add_f16_e32 v52, v35, v36
	v_fmac_f16_e32 v28, 0xb8b4, v32
	v_fmac_f16_e32 v30, 0x38b4, v32
	v_fmamk_f16 v39, v33, 0x3b9c, v54
	v_sub_f16_e32 v32, v38, v37
	v_fmac_f16_e32 v54, 0xbb9c, v33
	v_fma_f16 v55, -0.5, v55, v56
	v_sub_f16_e32 v57, v9, v1
	v_sub_f16_e32 v87, v5, v3
	v_fmac_f16_e32 v56, -0.5, v52
	v_fmac_f16_e32 v28, 0x34f2, v21
	v_fmac_f16_e32 v39, 0x38b4, v32
	;; [unrolled: 1-line block ×3, first 2 shown]
	v_fmamk_f16 v21, v32, 0xbb9c, v48
	v_fmac_f16_e32 v54, 0xb8b4, v32
	v_fmac_f16_e32 v48, 0x3b9c, v32
	v_fmamk_f16 v52, v57, 0xbb9c, v55
	v_sub_f16_e32 v32, v36, v38
	v_sub_f16_e32 v88, v35, v37
	v_fmamk_f16 v89, v87, 0x3b9c, v56
	v_sub_f16_e32 v36, v38, v36
	v_sub_f16_e32 v35, v37, v35
	v_fmac_f16_e32 v52, 0xb8b4, v87
	v_add_f16_e32 v37, v88, v32
	v_fmac_f16_e32 v56, 0xbb9c, v87
	v_fmac_f16_e32 v89, 0xb8b4, v57
	v_add_f16_e32 v32, v35, v36
	v_fmac_f16_e32 v55, 0x3b9c, v57
	v_fmac_f16_e32 v21, 0x38b4, v33
	;; [unrolled: 1-line block ×7, first 2 shown]
	s_load_b64 s[4:5], s[0:1], 0x8
	v_fmac_f16_e32 v39, 0x34f2, v20
	v_fmac_f16_e32 v21, 0x34f2, v34
	;; [unrolled: 1-line block ×4, first 2 shown]
	v_mul_f16_e32 v32, 0x38b4, v52
	v_mul_f16_e32 v33, 0x3b9c, v89
	v_fmac_f16_e32 v54, 0x34f2, v20
	v_fmac_f16_e32 v55, 0x34f2, v37
	v_pk_add_f16 v22, v40, v22
	v_pk_add_f16 v23, v43, v23
	v_mul_f16_e32 v34, 0x34f2, v48
	v_fmac_f16_e32 v32, 0x3a79, v39
	v_fmac_f16_e32 v33, 0x34f2, v21
	v_mul_f16_e32 v20, 0x3a79, v54
	v_mul_f16_e32 v35, 0xb8b4, v39
	v_mul_f16_e32 v36, 0xbb9c, v21
	v_mul_f16_e32 v21, 0x34f2, v56
	v_mul_f16_e32 v39, 0x3a79, v55
	v_mul_lo_u16 v40, v17, 10
	v_pk_add_f16 v12, v22, v12
	v_pk_add_f16 v13, v23, v13
	v_add_co_u32 v62, s0, 0x5a, v17
	v_fma_f16 v34, v56, 0x3b9c, -v34
	v_fma_f16 v37, v55, 0x38b4, -v20
	v_fmac_f16_e32 v35, 0x3a79, v52
	v_fmac_f16_e32 v36, 0x34f2, v89
	v_fma_f16 v38, v48, 0xbb9c, -v21
	v_fma_f16 v39, v54, 0xb8b4, -v39
	v_and_b32_e32 v22, 0xffff, v40
	v_pk_add_f16 v23, v12, v10
	v_pk_add_f16 v40, v13, v11
	s_wait_alu 0xf1ff
	v_add_co_ci_u32_e64 v26, null, 0, 0, s0
	v_sub_f16_e32 v54, v24, v32
	v_sub_f16_e32 v55, v27, v33
	;; [unrolled: 1-line block ×8, first 2 shown]
	v_lshlrev_b32_e32 v90, 2, v22
	v_pk_add_f16 v10, v23, v40
	v_pack_b32_f16 v11, v41, v46
	v_pack_b32_f16 v13, v44, v49
	;; [unrolled: 1-line block ×3, first 2 shown]
	v_mul_u32_u24_e32 v87, 10, v62
	v_pk_add_f16 v23, v23, v40 neg_lo:[0,1] neg_hi:[0,1]
	v_pack_b32_f16 v40, v51, v60
	v_pack_b32_f16 v41, v53, v61
	;; [unrolled: 1-line block ×5, first 2 shown]
	global_wb scope:SCOPE_SE
	s_wait_kmcnt 0x0
	s_barrier_signal -1
	s_barrier_wait -1
	global_inv scope:SCOPE_SE
	ds_store_2addr_b64 v90, v[10:11], v[12:13] offset1:1
	ds_store_2addr_b64 v90, v[22:23], v[40:41] offset0:2 offset1:3
	ds_store_b64 v90, v[42:43] offset:32
	s_and_saveexec_b32 s0, vcc_lo
	s_cbranch_execz .LBB0_7
; %bb.6:
	v_pk_add_f16 v6, v8, v6
	v_pk_add_f16 v7, v9, v7
	v_add_f16_e32 v9, v29, v38
	v_add_f16_e32 v11, v24, v32
	;; [unrolled: 1-line block ×3, first 2 shown]
	v_pk_add_f16 v4, v4, v6
	v_pk_add_f16 v5, v5, v7
	v_add_f16_e32 v6, v31, v36
	v_add_f16_e32 v7, v28, v35
	;; [unrolled: 1-line block ×3, first 2 shown]
	v_pk_add_f16 v2, v2, v4
	v_pk_add_f16 v3, v3, v5
	v_add_f16_e32 v4, v25, v34
	v_add_f16_e32 v5, v27, v33
	v_lshlrev_b32_e32 v14, 2, v87
	v_pk_add_f16 v12, v0, v2
	v_pk_add_f16 v13, v1, v3
	v_pack_b32_f16 v1, v4, v9
	v_pack_b32_f16 v0, v5, v6
	;; [unrolled: 1-line block ×3, first 2 shown]
	v_perm_b32 v7, v57, v55, 0x5040100
	v_pk_add_f16 v2, v13, v12
	v_pk_add_f16 v5, v12, v13 neg_lo:[0,1] neg_hi:[0,1]
	v_perm_b32 v6, v56, v54, 0x5040100
	v_pack_b32_f16 v4, v10, v8
	v_perm_b32 v9, v88, v21, 0x5040100
	v_perm_b32 v8, v89, v20, 0x5040100
	ds_store_2addr_b64 v14, v[2:3], v[0:1] offset1:1
	ds_store_2addr_b64 v14, v[4:5], v[6:7] offset0:2 offset1:3
	ds_store_b64 v14, v[8:9] offset:32
.LBB0_7:
	s_wait_alu 0xfffe
	s_or_b32 exec_lo, exec_lo, s0
	v_and_b32_e32 v0, 0xff, v17
	global_wb scope:SCOPE_SE
	s_wait_dscnt 0x0
	s_barrier_signal -1
	s_barrier_wait -1
	global_inv scope:SCOPE_SE
	v_mul_lo_u16 v0, 0xcd, v0
	v_add_nc_u32_e32 v22, 0x200, v64
	v_add_nc_u32_e32 v25, 0x400, v64
	;; [unrolled: 1-line block ×4, first 2 shown]
	v_lshrrev_b16 v44, 11, v0
	v_add_nc_u32_e32 v38, 0xc00, v64
	v_add_nc_u32_e32 v27, 0x1000, v64
	;; [unrolled: 1-line block ×4, first 2 shown]
	v_mul_lo_u16 v0, v44, 10
	v_and_b32_e32 v44, 0xffff, v44
	v_cmp_gt_u16_e64 s0, 30, v17
	s_delay_alu instid0(VALU_DEP_3) | instskip(NEXT) | instid1(VALU_DEP_3)
	v_sub_nc_u16 v0, v17, v0
	v_mul_u32_u24_e32 v44, 0xa0, v44
	s_delay_alu instid0(VALU_DEP_2) | instskip(NEXT) | instid1(VALU_DEP_1)
	v_and_b32_e32 v45, 0xff, v0
	v_mad_co_u64_u32 v[12:13], null, v45, 60, s[4:5]
	s_delay_alu instid0(VALU_DEP_3)
	v_or_b32_e32 v44, v44, v45
	s_clause 0x3
	global_load_b128 v[8:11], v[12:13], off
	global_load_b128 v[4:7], v[12:13], off offset:16
	global_load_b128 v[0:3], v[12:13], off offset:32
	global_load_b96 v[12:14], v[12:13], off offset:48
	ds_load_2addr_b32 v[28:29], v64 offset1:90
	ds_load_2addr_b32 v[30:31], v22 offset0:52 offset1:142
	ds_load_2addr_b32 v[32:33], v25 offset0:104 offset1:194
	;; [unrolled: 1-line block ×7, first 2 shown]
	v_lshlrev_b32_e32 v86, 2, v44
	global_wb scope:SCOPE_SE
	s_wait_loadcnt_dscnt 0x0
	s_barrier_signal -1
	s_barrier_wait -1
	global_inv scope:SCOPE_SE
	v_lshrrev_b32_e32 v48, 16, v29
	v_lshrrev_b32_e32 v49, 16, v30
	;; [unrolled: 1-line block ×31, first 2 shown]
	v_mul_f16_e32 v44, v48, v108
	v_mul_f16_e32 v109, v29, v108
	;; [unrolled: 1-line block ×20, first 2 shown]
	v_mul_f16_e64 v128, v63, v98
	v_mul_f16_e64 v129, v39, v98
	;; [unrolled: 1-line block ×10, first 2 shown]
	v_fma_f16 v30, v30, v9, -v110
	v_fma_f16 v31, v31, v10, -v112
	;; [unrolled: 1-line block ×4, first 2 shown]
	v_fmac_f16_e32 v109, v48, v8
	v_fmac_f16_e32 v111, v49, v9
	;; [unrolled: 1-line block ×6, first 2 shown]
	v_fma_f16 v29, v29, v8, -v44
	v_fma_f16 v34, v34, v5, -v118
	;; [unrolled: 1-line block ×3, first 2 shown]
	v_fmac_f16_e32 v121, v58, v6
	v_fma_f16 v36, v36, v7, -v122
	v_fmac_f16_e32 v123, v59, v7
	v_fma_f16 v37, v37, v0, -v124
	;; [unrolled: 2-line block ×4, first 2 shown]
	v_fmac_f16_e64 v129, v63, v2
	v_fma_f16 v40, v40, v3, -v130
	v_fmac_f16_e64 v131, v45, v3
	v_fma_f16 v41, v41, v12, -v132
	;; [unrolled: 2-line block ×4, first 2 shown]
	v_fmac_f16_e64 v137, v96, v14
	v_sub_f16_e32 v36, v28, v36
	v_sub_f16_e32 v44, v47, v123
	v_sub_f16_e32 v40, v32, v40
	v_sub_f16_e64 v45, v115, v131
	v_sub_f16_e32 v38, v30, v38
	v_sub_f16_e32 v48, v111, v127
	v_sub_f16_e32 v42, v34, v42
	v_sub_f16_e64 v49, v119, v135
	;; [unrolled: 4-line block ×3, first 2 shown]
	v_sub_f16_e32 v39, v31, v39
	v_sub_f16_e64 v52, v113, v129
	v_sub_f16_e32 v43, v35, v43
	v_sub_f16_e64 v53, v121, v137
	v_fma_f16 v47, v47, 2.0, -v44
	v_fma_f16 v32, v32, 2.0, -v40
	;; [unrolled: 1-line block ×12, first 2 shown]
	v_sub_f16_e32 v45, v36, v45
	v_add_f16_e32 v40, v44, v40
	v_sub_f16_e32 v49, v38, v49
	v_add_f16_e32 v42, v48, v42
	;; [unrolled: 2-line block ×4, first 2 shown]
	v_fma_f16 v28, v28, 2.0, -v36
	v_fma_f16 v30, v30, 2.0, -v38
	;; [unrolled: 1-line block ×4, first 2 shown]
	v_sub_f16_e32 v58, v47, v58
	v_fma_f16 v36, v36, 2.0, -v45
	v_fma_f16 v44, v44, 2.0, -v40
	v_sub_f16_e32 v60, v59, v60
	v_fma_f16 v38, v38, 2.0, -v49
	v_fma_f16 v48, v48, 2.0, -v42
	;; [unrolled: 3-line block ×4, first 2 shown]
	v_fmamk_f16 v96, v49, 0x39a8, v45
	v_fmamk_f16 v109, v42, 0x39a8, v40
	v_sub_f16_e32 v32, v28, v32
	v_sub_f16_e32 v34, v30, v34
	;; [unrolled: 1-line block ×4, first 2 shown]
	v_fmamk_f16 v110, v53, 0x39a8, v51
	v_fmamk_f16 v111, v43, 0x39a8, v41
	v_fma_f16 v47, v47, 2.0, -v58
	v_fma_f16 v59, v59, 2.0, -v60
	;; [unrolled: 1-line block ×4, first 2 shown]
	v_fmamk_f16 v112, v38, 0xb9a8, v36
	v_fmamk_f16 v113, v48, 0xb9a8, v44
	v_fmac_f16_e32 v96, 0xb9a8, v42
	v_fmac_f16_e32 v109, 0x39a8, v49
	v_fmamk_f16 v42, v39, 0xb9a8, v37
	v_fmamk_f16 v49, v52, 0xb9a8, v50
	v_fma_f16 v30, v30, 2.0, -v34
	v_fma_f16 v31, v31, 2.0, -v35
	v_sub_f16_e32 v60, v32, v60
	v_add_f16_e32 v34, v58, v34
	v_sub_f16_e32 v94, v33, v94
	v_add_f16_e32 v35, v63, v35
	v_fmac_f16_e32 v110, 0xb9a8, v43
	v_fmac_f16_e32 v111, 0x39a8, v53
	v_fma_f16 v28, v28, 2.0, -v32
	v_fma_f16 v29, v29, 2.0, -v33
	v_sub_f16_e32 v43, v47, v59
	v_fmac_f16_e32 v112, 0xb9a8, v48
	v_fmac_f16_e32 v113, 0x39a8, v38
	v_sub_f16_e32 v48, v61, v91
	v_fmac_f16_e32 v42, 0xb9a8, v52
	v_fmac_f16_e32 v49, 0x39a8, v39
	v_fma_f16 v32, v32, 2.0, -v60
	v_fma_f16 v38, v58, 2.0, -v34
	;; [unrolled: 1-line block ×8, first 2 shown]
	v_sub_f16_e32 v30, v28, v30
	v_sub_f16_e32 v31, v29, v31
	v_fmamk_f16 v52, v94, 0x39a8, v60
	v_fmamk_f16 v53, v35, 0x39a8, v34
	v_fmamk_f16 v63, v110, 0x3b64, v96
	v_fma_f16 v137, 0x3b64, v111, v109
	v_fma_f16 v47, v47, 2.0, -v43
	v_fma_f16 v36, v36, 2.0, -v112
	;; [unrolled: 1-line block ×6, first 2 shown]
	v_fmamk_f16 v59, v33, 0xb9a8, v32
	v_fmamk_f16 v61, v39, 0xb9a8, v38
	;; [unrolled: 1-line block ×6, first 2 shown]
	v_fma_f16 v29, v29, 2.0, -v31
	v_sub_f16_e32 v48, v30, v48
	v_add_f16_e32 v31, v43, v31
	v_fmac_f16_e32 v52, 0xb9a8, v35
	v_fmac_f16_e32 v53, 0x39a8, v94
	;; [unrolled: 1-line block ×3, first 2 shown]
	v_fmac_f16_e64 v137, 0x361f, v110
	v_fma_f16 v28, v28, 2.0, -v30
	v_sub_f16_e32 v35, v47, v58
	v_fmamk_f16 v58, v37, 0xbb64, v36
	v_fmamk_f16 v94, v50, 0xbb64, v44
	v_fmac_f16_e32 v59, 0xb9a8, v39
	v_fmac_f16_e32 v61, 0x39a8, v33
	;; [unrolled: 1-line block ×6, first 2 shown]
	v_fma_f16 v30, v30, 2.0, -v48
	v_fma_f16 v33, v43, 2.0, -v31
	;; [unrolled: 1-line block ×6, first 2 shown]
	v_sub_f16_e32 v29, v28, v29
	v_fmac_f16_e32 v58, 0xb61f, v50
	v_fmac_f16_e32 v94, 0x361f, v37
	v_fma_f16 v32, v32, 2.0, -v59
	v_fma_f16 v37, v38, 2.0, -v61
	;; [unrolled: 1-line block ×6, first 2 shown]
	v_pack_b32_f16 v30, v30, v33
	v_pack_b32_f16 v33, v39, v34
	;; [unrolled: 1-line block ×3, first 2 shown]
	v_fma_f16 v28, v28, 2.0, -v29
	v_fma_f16 v47, v47, 2.0, -v35
	;; [unrolled: 1-line block ×4, first 2 shown]
	v_pack_b32_f16 v31, v48, v31
	v_pack_b32_f16 v43, v52, v53
	;; [unrolled: 1-line block ×10, first 2 shown]
	ds_store_2addr_b32 v86, v33, v34 offset0:60 offset1:70
	v_pack_b32_f16 v33, v58, v94
	v_pack_b32_f16 v28, v28, v47
	;; [unrolled: 1-line block ×3, first 2 shown]
	ds_store_2addr_b32 v86, v43, v48 offset0:140 offset1:150
	ds_store_2addr_b32 v86, v35, v39 offset0:100 offset1:110
	;; [unrolled: 1-line block ×6, first 2 shown]
	ds_store_2addr_b32 v86, v28, v34 offset1:10
	global_wb scope:SCOPE_SE
	s_wait_dscnt 0x0
	s_barrier_signal -1
	s_barrier_wait -1
	global_inv scope:SCOPE_SE
	ds_load_2addr_b32 v[48:49], v64 offset1:90
	ds_load_2addr_b32 v[38:39], v25 offset0:104 offset1:224
	ds_load_2addr_b32 v[52:53], v46 offset0:64 offset1:154
	;; [unrolled: 1-line block ×6, first 2 shown]
	ds_load_b32 v58, v64 offset:5280
	s_and_saveexec_b32 s1, s0
	s_cbranch_execz .LBB0_9
; %bb.8:
	ds_load_b32 v63, v64 offset:1800
	ds_load_b32 v54, v64 offset:3720
	;; [unrolled: 1-line block ×3, first 2 shown]
	s_wait_dscnt 0x2
	v_lshrrev_b32_e32 v137, 16, v63
	s_wait_dscnt 0x1
	v_lshrrev_b32_e32 v56, 16, v54
	;; [unrolled: 2-line block ×3, first 2 shown]
.LBB0_9:
	s_wait_alu 0xfffe
	s_or_b32 exec_lo, exec_lo, s1
	v_lshlrev_b64_e32 v[22:23], 3, v[17:18]
	v_add_co_u32 v18, s1, 0xffffffba, v17
	s_wait_alu 0xf1ff
	v_add_co_ci_u32_e64 v24, null, 0, -1, s1
	v_cmp_gt_u16_e64 s1, 0x46, v17
	v_add_co_u32 v40, s2, 0x10e, v17
	s_wait_dscnt 0x5
	v_lshrrev_b32_e32 v112, 16, v52
	s_wait_dscnt 0x4
	v_lshrrev_b32_e32 v114, 16, v50
	s_wait_alu 0xf1ff
	v_cndmask_b32_e64 v60, v24, v26, s1
	v_cndmask_b32_e64 v59, v18, v62, s1
	v_add_co_u32 v36, s1, s4, v22
	s_wait_alu 0xf1ff
	v_add_co_ci_u32_e64 v37, s1, s5, v23, s1
	s_delay_alu instid0(VALU_DEP_3) | instskip(SKIP_4) | instid1(VALU_DEP_4)
	v_lshlrev_b64_e32 v[26:27], 3, v[59:60]
	v_add_co_u32 v24, s1, 0x168, v17
	v_and_b32_e32 v18, 0xffff, v40
	s_wait_alu 0xf1ff
	v_add_co_ci_u32_e64 v25, null, 0, 0, s1
	v_add_co_u32 v26, s1, s4, v26
	s_wait_alu 0xf1ff
	v_add_co_ci_u32_e64 v27, s1, s5, v27, s1
	v_and_b32_e32 v30, 0xffff, v24
	v_add_co_u32 v109, s1, 0x1c2, v17
	v_mul_u32_u24_e32 v18, 0xcccd, v18
	s_clause 0x1
	global_load_b64 v[22:23], v[36:37], off offset:600
	global_load_b64 v[28:29], v[26:27], off offset:600
	v_mul_u32_u24_e32 v26, 0xcccd, v30
	v_and_b32_e32 v27, 0xffff, v109
	v_lshrrev_b32_e32 v18, 23, v18
	s_wait_alu 0xf1ff
	v_add_co_ci_u32_e64 v110, null, 0, 0, s1
	v_lshrrev_b32_e32 v26, 23, v26
	v_mul_u32_u24_e32 v27, 0xcccd, v27
	v_mul_lo_u16 v30, 0xa0, v18
	v_lshrrev_b32_e32 v115, 16, v53
	v_lshrrev_b32_e32 v113, 16, v49
	v_mul_lo_u16 v26, 0xa0, v26
	v_lshrrev_b32_e32 v27, 23, v27
	v_sub_nc_u16 v91, v40, v30
	v_lshrrev_b32_e32 v118, 16, v51
	s_wait_dscnt 0x2
	v_lshrrev_b32_e32 v120, 16, v46
	v_sub_nc_u16 v94, v24, v26
	v_mul_lo_u16 v26, 0xa0, v27
	v_lshlrev_b16 v30, 3, v91
	v_mad_u16 v18, 0x1e0, v18, v91
	s_wait_dscnt 0x1
	v_lshrrev_b32_e32 v123, 16, v44
	v_and_b32_e32 v91, 0xffff, v94
	v_sub_nc_u16 v111, v109, v26
	v_and_b32_e32 v27, 0xffff, v30
	v_lshlrev_b16 v30, 3, v94
	v_and_b32_e32 v117, 0xffff, v18
	v_lshlrev_b32_e32 v18, 2, v91
	v_lshlrev_b16 v31, 3, v111
	v_add_co_u32 v26, s1, s4, v27
	s_wait_alu 0xf1ff
	v_add_co_ci_u32_e64 v27, null, s5, 0, s1
	v_and_b32_e32 v30, 0xffff, v30
	v_and_b32_e32 v31, 0xffff, v31
	s_clause 0x1
	global_load_b64 v[32:33], v[26:27], off offset:600
	global_load_b64 v[34:35], v[36:37], off offset:760
	v_and_b32_e32 v91, 0xffff, v111
	v_add_co_u32 v26, s1, s4, v30
	s_wait_alu 0xf1ff
	v_add_co_ci_u32_e64 v27, null, s5, 0, s1
	v_add_co_u32 v60, s1, s4, v31
	s_wait_alu 0xf1ff
	v_add_co_ci_u32_e64 v61, null, s5, 0, s1
	s_clause 0x1
	global_load_b64 v[30:31], v[26:27], off offset:600
	global_load_b64 v[26:27], v[60:61], off offset:600
	v_cmp_lt_u16_e64 s1, 0x45, v17
	v_lshrrev_b32_e32 v61, 16, v39
	v_lshrrev_b32_e32 v60, 16, v48
	;; [unrolled: 1-line block ×4, first 2 shown]
	s_wait_alu 0xf1ff
	v_cndmask_b32_e64 v94, 0, 0x1e0, s1
	s_wait_dscnt 0x0
	v_lshrrev_b32_e32 v136, 16, v58
	global_wb scope:SCOPE_SE
	s_wait_loadcnt 0x0
	s_barrier_signal -1
	s_barrier_wait -1
	v_add_lshl_u32 v96, v59, v94, 2
	v_lshlrev_b32_e32 v94, 2, v117
	global_inv scope:SCOPE_SE
	v_lshrrev_b32_e32 v116, 16, v42
	v_lshrrev_b32_e32 v121, 16, v43
	;; [unrolled: 1-line block ×3, first 2 shown]
	v_add_co_ci_u32_e64 v41, null, 0, 0, s2
	v_add_nc_u32_e32 v139, 0x700, v64
	v_add_nc_u32_e32 v59, 0xe00, v18
	v_lshrrev_b32_e32 v128, 16, v22
	v_lshrrev_b32_e32 v125, 16, v23
	;; [unrolled: 1-line block ×4, first 2 shown]
	s_delay_alu instid0(VALU_DEP_4) | instskip(SKIP_3) | instid1(VALU_DEP_4)
	v_mul_f16_e64 v111, v61, v128
	v_mul_f16_e64 v117, v39, v128
	v_mul_f16_e32 v119, v112, v125
	v_mul_f16_e32 v124, v52, v125
	v_fma_f16 v39, v39, v22, -v111
	s_delay_alu instid0(VALU_DEP_4) | instskip(NEXT) | instid1(VALU_DEP_4)
	v_fmac_f16_e32 v117, v61, v22
	v_fma_f16 v52, v52, v23, -v119
	s_delay_alu instid0(VALU_DEP_4)
	v_fmac_f16_e32 v124, v112, v23
	v_mul_f16_e32 v61, v114, v126
	v_mul_f16_e32 v111, v50, v126
	;; [unrolled: 1-line block ×4, first 2 shown]
	v_add_f16_e64 v129, v39, v52
	v_sub_f16_e64 v130, v117, v124
	v_add_f16_e64 v131, v60, v117
	v_add_f16_e32 v117, v117, v124
	v_add_f16_e32 v127, v48, v39
	v_sub_f16_e32 v39, v39, v52
	v_fma_f16 v50, v50, v28, -v61
	v_fmac_f16_e32 v111, v114, v28
	v_fma_f16 v53, v53, v29, -v112
	v_fma_f16 v48, -0.5, v129, v48
	v_fmac_f16_e32 v119, v115, v29
	v_fmac_f16_e32 v60, -0.5, v117
	v_add_f16_e32 v52, v127, v52
	v_add_f16_e64 v61, v131, v124
	v_fma_f16 v112, 0x3aee, v130, v48
	v_add_f16_e32 v115, v50, v53
	v_fmamk_f16 v114, v39, 0xbaee, v60
	v_fmac_f16_e32 v60, 0x3aee, v39
	v_add_f16_e32 v39, v49, v50
	v_sub_f16_e64 v138, v111, v119
	v_add_f16_e32 v117, v113, v111
	v_add_f16_e32 v111, v111, v119
	v_fmac_f16_e64 v48, 0xbaee, v130
	v_sub_f16_e32 v50, v50, v53
	v_pack_b32_f16 v52, v52, v61
	v_add_f16_e32 v39, v39, v53
	v_fmac_f16_e32 v49, -0.5, v115
	v_add_f16_e32 v53, v117, v119
	v_fmac_f16_e32 v113, -0.5, v111
	v_pack_b32_f16 v61, v112, v114
	v_lshrrev_b32_e32 v132, 16, v34
	v_lshrrev_b32_e32 v131, 16, v35
	v_pack_b32_f16 v48, v48, v60
	v_lshrrev_b32_e32 v130, 16, v32
	v_lshrrev_b32_e32 v129, 16, v33
	v_lshrrev_b32_e32 v127, 16, v30
	v_lshrrev_b32_e32 v124, 16, v31
	v_lshrrev_b32_e32 v119, 16, v26
	v_lshrrev_b32_e32 v117, 16, v27
	v_fma_f16 v60, 0x3aee, v138, v49
	v_fmamk_f16 v111, v50, 0xbaee, v113
	v_fmac_f16_e32 v113, 0x3aee, v50
	ds_store_2addr_b32 v64, v52, v61 offset1:160
	ds_store_b32 v64, v48 offset:1280
	v_pack_b32_f16 v39, v39, v53
	v_mul_f16_e64 v48, v118, v132
	v_mul_f16_e64 v50, v51, v132
	;; [unrolled: 1-line block ×4, first 2 shown]
	v_fmac_f16_e64 v49, 0xbaee, v138
	v_mul_f16_e64 v61, v123, v130
	v_mul_f16_e64 v112, v44, v130
	;; [unrolled: 1-line block ×12, first 2 shown]
	v_pack_b32_f16 v60, v60, v111
	v_fma_f16 v48, v51, v34, -v48
	v_fmac_f16_e32 v50, v118, v34
	v_fma_f16 v46, v46, v35, -v52
	v_fmac_f16_e32 v53, v120, v35
	v_pack_b32_f16 v49, v49, v113
	v_fma_f16 v44, v44, v32, -v61
	v_fmac_f16_e32 v112, v123, v32
	v_fma_f16 v47, v47, v33, -v114
	v_fmac_f16_e64 v115, v133, v33
	v_fma_f16 v45, v45, v30, -v138
	v_fmac_f16_e64 v140, v135, v30
	;; [unrolled: 2-line block ×5, first 2 shown]
	ds_store_2addr_b32 v96, v39, v60 offset1:160
	ds_store_b32 v96, v49 offset:1280
	v_add_f16_e32 v49, v48, v46
	v_sub_f16_e32 v55, v50, v53
	v_add_f16_e32 v56, v116, v50
	v_add_f16_e32 v50, v50, v53
	;; [unrolled: 1-line block ×5, first 2 shown]
	v_add_f16_e64 v120, v140, v142
	v_add_f16_e32 v39, v42, v48
	v_sub_f16_e32 v48, v48, v46
	v_add_f16_e32 v57, v43, v44
	v_add_f16_e32 v61, v121, v112
	;; [unrolled: 1-line block ×3, first 2 shown]
	v_add_f16_e64 v133, v52, v54
	v_add_f16_e64 v138, v144, v146
	v_fma_f16 v42, -0.5, v49, v42
	v_fmac_f16_e32 v116, -0.5, v50
	v_sub_f16_e32 v60, v112, v115
	v_sub_f16_e32 v44, v44, v47
	v_fmac_f16_e32 v43, -0.5, v58
	v_fmac_f16_e32 v121, -0.5, v111
	v_add_f16_e32 v112, v38, v45
	v_sub_f16_e64 v114, v140, v142
	v_add_f16_e64 v118, v134, v140
	v_sub_f16_e32 v45, v45, v51
	v_fmac_f16_e32 v38, -0.5, v113
	v_fmac_f16_e64 v134, -0.5, v120
	v_sub_f16_e64 v135, v144, v146
	v_add_f16_e64 v136, v137, v144
	v_sub_f16_e32 v52, v52, v54
	v_add_f16_e32 v39, v39, v46
	v_add_f16_e32 v49, v56, v53
	;; [unrolled: 1-line block ×5, first 2 shown]
	v_fmac_f16_e64 v63, -0.5, v133
	v_fmac_f16_e64 v137, -0.5, v138
	v_fmamk_f16 v54, v55, 0x3aee, v42
	v_fmac_f16_e32 v42, 0xbaee, v55
	v_fmamk_f16 v55, v48, 0xbaee, v116
	v_fmac_f16_e32 v116, 0x3aee, v48
	v_fmamk_f16 v48, v60, 0x3aee, v43
	v_fmamk_f16 v57, v44, 0xbaee, v121
	v_fmac_f16_e32 v43, 0xbaee, v60
	v_fmac_f16_e32 v121, 0x3aee, v44
	v_add_f16_e32 v51, v112, v51
	v_add_f16_e64 v56, v118, v142
	v_fmamk_f16 v44, v114, 0x3aee, v38
	v_fma_f16 v58, 0xbaee, v45, v134
	v_add_f16_e64 v133, v136, v146
	v_fmac_f16_e32 v38, 0xbaee, v114
	v_fmac_f16_e64 v134, 0x3aee, v45
	v_fma_f16 v46, 0x3aee, v135, v63
	v_fmac_f16_e64 v63, 0xbaee, v135
	v_fma_f16 v138, 0xbaee, v52, v137
	v_fmac_f16_e64 v137, 0x3aee, v52
	v_pack_b32_f16 v39, v39, v49
	v_pack_b32_f16 v45, v50, v53
	;; [unrolled: 1-line block ×9, first 2 shown]
	ds_store_2addr_b32 v139, v39, v50 offset0:52 offset1:212
	ds_store_b32 v64, v42 offset:3280
	ds_store_2addr_b32 v94, v45, v48 offset1:160
	ds_store_b32 v94, v43 offset:1280
	ds_store_2addr_b32 v59, v49, v44 offset0:64 offset1:224
	ds_store_b32 v18, v38 offset:5120
	s_and_saveexec_b32 s1, s0
	s_cbranch_execz .LBB0_11
; %bb.10:
	v_lshlrev_b32_e32 v38, 2, v91
	v_perm_b32 v39, v133, v47, 0x5040100
	v_perm_b32 v42, v138, v46, 0x5040100
	;; [unrolled: 1-line block ×3, first 2 shown]
	s_delay_alu instid0(VALU_DEP_4)
	v_add_nc_u32_e32 v43, 0xe00, v38
	ds_store_2addr_b32 v43, v39, v42 offset0:64 offset1:224
	ds_store_b32 v38, v44 offset:5120
.LBB0_11:
	s_wait_alu 0xfffe
	s_or_b32 exec_lo, exec_lo, s1
	v_add_nc_u32_e32 v38, 0x400, v64
	global_wb scope:SCOPE_SE
	s_wait_dscnt 0x0
	s_barrier_signal -1
	s_barrier_wait -1
	global_inv scope:SCOPE_SE
	ds_load_2addr_b32 v[52:53], v64 offset1:90
	ds_load_2addr_b32 v[50:51], v38 offset0:104 offset1:224
	v_add_nc_u32_e32 v38, 0xe00, v64
	v_add_nc_u32_e32 v139, 0x800, v64
	;; [unrolled: 1-line block ×5, first 2 shown]
	ds_load_2addr_b32 v[60:61], v38 offset0:64 offset1:154
	ds_load_2addr_b32 v[58:59], v139 offset0:58 offset1:148
	;; [unrolled: 1-line block ×5, first 2 shown]
	ds_load_b32 v136, v64 offset:5280
	s_and_saveexec_b32 s1, s0
	s_cbranch_execz .LBB0_13
; %bb.12:
	ds_load_b32 v47, v64 offset:1800
	ds_load_b32 v46, v64 offset:3720
	;; [unrolled: 1-line block ×3, first 2 shown]
	s_wait_dscnt 0x2
	v_lshrrev_b32_e32 v133, 16, v47
	s_wait_dscnt 0x1
	v_lshrrev_b32_e32 v138, 16, v46
	;; [unrolled: 2-line block ×3, first 2 shown]
.LBB0_13:
	s_wait_alu 0xfffe
	s_or_b32 exec_lo, exec_lo, s1
	v_lshlrev_b64_e32 v[40:41], 3, v[40:41]
	v_lshlrev_b64_e32 v[24:25], 3, v[24:25]
	v_lshlrev_b32_e32 v38, 3, v62
	v_lshl_add_u32 v42, v17, 3, 0x5a0
	global_load_b64 v[36:37], v[36:37], off offset:1880
	s_wait_dscnt 0x4
	v_lshrrev_b32_e32 v144, 16, v58
	v_add_co_u32 v40, s1, s4, v40
	global_load_b64 v[42:43], v42, s[4:5] offset:1880
	v_add_co_u32 v24, s2, s4, v24
	s_wait_alu 0xf1ff
	v_add_co_ci_u32_e64 v41, s1, s5, v41, s1
	v_add_co_ci_u32_e64 v25, s1, s5, v25, s2
	s_clause 0x2
	global_load_b64 v[38:39], v38, s[4:5] offset:1880
	global_load_b64 v[44:45], v[40:41], off offset:1880
	global_load_b64 v[40:41], v[24:25], off offset:1880
	v_add_co_u32 v24, s1, 0xffffffe2, v17
	s_wait_alu 0xf1ff
	v_add_co_ci_u32_e64 v25, null, 0, -1, s1
	v_lshrrev_b32_e32 v145, 16, v61
	s_delay_alu instid0(VALU_DEP_3) | instskip(SKIP_1) | instid1(VALU_DEP_4)
	v_cndmask_b32_e64 v24, v24, v109, s0
	v_lshrrev_b32_e32 v109, 16, v51
	v_cndmask_b32_e64 v25, v25, v110, s0
	v_lshrrev_b32_e32 v110, 16, v60
	s_wait_dscnt 0x2
	v_lshrrev_b32_e32 v148, 16, v56
	v_lshrrev_b32_e32 v62, 16, v52
	;; [unrolled: 1-line block ×3, first 2 shown]
	v_lshlrev_b64_e32 v[24:25], 3, v[24:25]
	s_wait_dscnt 0x1
	v_lshrrev_b32_e32 v149, 16, v54
	v_lshrrev_b32_e32 v140, 16, v53
	;; [unrolled: 1-line block ×5, first 2 shown]
	v_add_co_u32 v24, s1, s4, v24
	s_wait_alu 0xf1ff
	v_add_co_ci_u32_e64 v25, s1, s5, v25, s1
	s_wait_dscnt 0x0
	v_lshrrev_b32_e32 v152, 16, v136
	v_lshrrev_b32_e32 v134, 16, v49
	v_lshrrev_b32_e32 v135, 16, v50
	global_load_b64 v[24:25], v[24:25], off offset:1880
	s_wait_loadcnt 0x5
	v_lshrrev_b32_e32 v123, 16, v36
	v_lshrrev_b32_e32 v120, 16, v37
	s_wait_loadcnt 0x4
	v_lshrrev_b32_e32 v115, 16, v42
	s_delay_alu instid0(VALU_DEP_3)
	v_mul_f16_e32 v111, v109, v123
	v_mul_f16_e64 v153, v51, v123
	v_mul_f16_e32 v112, v110, v120
	v_mul_f16_e64 v154, v60, v120
	v_lshrrev_b32_e32 v113, 16, v43
	v_fma_f16 v51, v51, v36, -v111
	s_wait_loadcnt 0x3
	v_lshrrev_b32_e32 v121, 16, v38
	v_lshrrev_b32_e32 v118, 16, v39
	v_fmac_f16_e64 v153, v109, v36
	v_fma_f16 v60, v60, v37, -v112
	v_fmac_f16_e64 v154, v110, v37
	v_mul_f16_e64 v109, v144, v121
	v_mul_f16_e32 v110, v58, v121
	v_mul_f16_e64 v155, v145, v118
	v_mul_f16_e64 v156, v61, v118
	v_mul_f16_e64 v158, v59, v115
	v_mul_f16_e64 v159, v148, v113
	v_mul_f16_e64 v160, v56, v113
	s_wait_loadcnt 0x2
	v_lshrrev_b32_e32 v116, 16, v44
	v_lshrrev_b32_e32 v114, 16, v45
	s_wait_loadcnt 0x1
	v_lshrrev_b32_e32 v112, 16, v40
	v_lshrrev_b32_e32 v111, 16, v41
	v_mul_f16_e64 v157, v147, v115
	v_fma_f16 v58, v58, v38, -v109
	v_fmac_f16_e64 v110, v144, v38
	v_fma_f16 v61, v61, v39, -v155
	v_fmac_f16_e64 v156, v145, v39
	v_fmac_f16_e64 v158, v147, v42
	v_fma_f16 v56, v56, v43, -v159
	v_fmac_f16_e64 v160, v148, v43
	v_add_f16_e32 v109, v52, v51
	v_add_f16_e64 v144, v51, v60
	v_sub_f16_e64 v145, v153, v154
	v_add_f16_e64 v147, v62, v153
	v_add_f16_e64 v148, v153, v154
	v_mul_f16_e64 v153, v149, v116
	v_mul_f16_e64 v155, v54, v116
	;; [unrolled: 1-line block ×5, first 2 shown]
	v_fma_f16 v59, v59, v42, -v157
	v_sub_f16_e32 v51, v51, v60
	v_mul_f16_e64 v157, v150, v114
	v_mul_f16_e64 v161, v151, v112
	;; [unrolled: 1-line block ×3, first 2 shown]
	v_add_f16_e32 v60, v109, v60
	v_fma_f16 v52, -0.5, v144, v52
	v_add_f16_e64 v144, v147, v154
	v_fmac_f16_e64 v62, -0.5, v148
	v_add_f16_e64 v147, v53, v58
	v_sub_f16_e64 v154, v110, v156
	v_add_f16_e64 v165, v140, v110
	v_add_f16_e64 v166, v110, v156
	v_sub_f16_e64 v169, v158, v160
	v_add_f16_e64 v170, v146, v158
	v_add_f16_e64 v158, v158, v160
	v_fma_f16 v54, v54, v44, -v153
	v_fmac_f16_e64 v155, v149, v44
	v_fmac_f16_e64 v159, v150, v45
	;; [unrolled: 1-line block ×4, first 2 shown]
	s_wait_loadcnt 0x0
	v_lshrrev_b32_e32 v110, 16, v24
	v_lshrrev_b32_e32 v109, 16, v25
	v_add_f16_e64 v148, v58, v61
	v_sub_f16_e32 v58, v58, v61
	v_fma_f16 v57, v57, v45, -v157
	v_fma_f16 v55, v55, v40, -v161
	;; [unrolled: 1-line block ×3, first 2 shown]
	v_fma_f16 v149, 0x3aee, v145, v52
	v_fmac_f16_e64 v52, 0xbaee, v145
	v_fma_f16 v145, 0xbaee, v51, v62
	v_fmac_f16_e32 v62, 0x3aee, v51
	v_add_f16_e64 v51, v147, v61
	v_add_f16_e64 v61, v165, v156
	;; [unrolled: 1-line block ×3, first 2 shown]
	v_fmac_f16_e64 v146, -0.5, v158
	v_pack_b32_f16 v60, v60, v144
	v_add_f16_e64 v144, v49, v54
	v_add_f16_e64 v151, v134, v155
	v_add_f16_e64 v152, v155, v159
	v_sub_f16_e64 v156, v162, v164
	v_add_f16_e64 v157, v135, v162
	v_add_f16_e64 v158, v162, v164
	v_mul_f16_e64 v160, v138, v110
	v_mul_f16_e64 v161, v46, v110
	;; [unrolled: 1-line block ×4, first 2 shown]
	v_add_f16_e64 v168, v59, v56
	v_add_f16_e64 v167, v48, v59
	v_sub_f16_e32 v59, v59, v56
	v_fmac_f16_e64 v53, -0.5, v148
	v_fmac_f16_e64 v140, -0.5, v166
	v_add_f16_e64 v148, v54, v57
	v_sub_f16_e32 v54, v54, v57
	v_pack_b32_f16 v51, v51, v61
	v_add_f16_e64 v57, v144, v57
	v_add_f16_e64 v61, v151, v159
	v_fmac_f16_e64 v134, -0.5, v152
	v_fma_f16 v46, v46, v24, -v160
	v_fmac_f16_e64 v161, v138, v24
	v_fma_f16 v63, v63, v25, -v162
	v_fmac_f16_e64 v163, v137, v25
	v_fma_f16 v48, -0.5, v168, v48
	v_sub_f16_e64 v150, v155, v159
	v_add_f16_e64 v155, v55, v136
	v_fma_f16 v165, 0x3aee, v154, v53
	v_fmac_f16_e64 v53, 0xbaee, v154
	v_fma_f16 v154, 0xbaee, v58, v140
	v_fmac_f16_e64 v140, 0x3aee, v58
	;; [unrolled: 2-line block ×3, first 2 shown]
	v_pack_b32_f16 v59, v149, v145
	v_fma_f16 v138, 0xbaee, v54, v134
	v_fmac_f16_e64 v134, 0x3aee, v54
	v_pack_b32_f16 v54, v57, v61
	v_add_f16_e32 v61, v46, v63
	v_add_f16_e64 v144, v161, v163
	v_fma_f16 v58, 0x3aee, v169, v48
	v_fmac_f16_e64 v48, 0xbaee, v169
	v_pack_b32_f16 v62, v52, v62
	v_fmac_f16_e64 v49, -0.5, v148
	v_add_f16_e64 v153, v50, v55
	v_sub_f16_e64 v55, v55, v136
	v_fmac_f16_e64 v50, -0.5, v155
	v_fmac_f16_e64 v135, -0.5, v158
	v_add_f16_e64 v56, v167, v56
	ds_store_b32 v64, v59 offset:1920
	ds_store_b32 v64, v62 offset:3840
	ds_store_2addr_b32 v64, v60, v51 offset1:90
	v_pack_b32_f16 v59, v53, v140
	v_add_f16_e32 v57, v47, v46
	v_sub_f16_e64 v62, v161, v163
	v_add_f16_e64 v140, v133, v161
	v_sub_f16_e64 v145, v46, v63
	v_fmac_f16_e32 v47, -0.5, v61
	v_fmac_f16_e64 v133, -0.5, v144
	v_pack_b32_f16 v51, v165, v154
	v_pack_b32_f16 v58, v58, v166
	;; [unrolled: 1-line block ×3, first 2 shown]
	v_fma_f16 v48, 0x3aee, v150, v49
	v_fmac_f16_e64 v49, 0xbaee, v150
	v_fma_f16 v53, 0x3aee, v156, v50
	v_fma_f16 v137, 0xbaee, v55, v135
	v_add_f16_e64 v52, v153, v136
	v_add_f16_e64 v136, v157, v164
	v_fmac_f16_e64 v50, 0xbaee, v156
	v_fmac_f16_e64 v135, 0x3aee, v55
	v_pack_b32_f16 v56, v56, v147
	ds_store_b32 v64, v59 offset:4200
	ds_store_2addr_b32 v139, v51, v58 offset0:58 offset1:148
	v_add_f16_e32 v51, v57, v63
	v_add_f16_e64 v139, v140, v163
	v_fmamk_f16 v46, v62, 0x3aee, v47
	v_fmac_f16_e32 v47, 0xbaee, v62
	v_fma_f16 v140, 0xbaee, v145, v133
	v_fmac_f16_e64 v133, 0x3aee, v145
	v_pack_b32_f16 v59, v49, v134
	v_pack_b32_f16 v58, v48, v138
	;; [unrolled: 1-line block ×5, first 2 shown]
	ds_store_2addr_b32 v141, v56, v54 offset0:52 offset1:142
	ds_store_2addr_b32 v142, v60, v59 offset0:116 offset1:206
	;; [unrolled: 1-line block ×3, first 2 shown]
	ds_store_b32 v64, v55 offset:1440
	ds_store_b32 v64, v61 offset:5280
	s_and_saveexec_b32 s1, s0
	s_cbranch_execz .LBB0_15
; %bb.14:
	v_perm_b32 v54, v139, v51, 0x5040100
	v_perm_b32 v55, v140, v46, 0x5040100
	;; [unrolled: 1-line block ×3, first 2 shown]
	ds_store_b32 v64, v54 offset:1800
	ds_store_b32 v64, v55 offset:3720
	;; [unrolled: 1-line block ×3, first 2 shown]
.LBB0_15:
	s_wait_alu 0xfffe
	s_or_b32 exec_lo, exec_lo, s1
	v_lshlrev_b32_e32 v57, 2, v17
	s_add_nc_u64 s[2:3], s[12:13], 0x1680
	global_wb scope:SCOPE_SE
	s_wait_dscnt 0x0
	s_barrier_signal -1
	s_barrier_wait -1
	global_inv scope:SCOPE_SE
	s_clause 0x9
	global_load_b32 v56, v[15:16], off offset:5760
	global_load_b32 v58, v57, s[2:3] offset:576
	global_load_b32 v144, v57, s[2:3] offset:1152
	;; [unrolled: 1-line block ×9, first 2 shown]
	ds_load_2addr_b32 v[54:55], v64 offset1:144
	s_wait_dscnt 0x0
	v_lshrrev_b32_e32 v59, 16, v54
	v_lshrrev_b32_e32 v61, 16, v55
	s_wait_loadcnt 0x9
	v_lshrrev_b32_e32 v60, 16, v56
	s_wait_loadcnt 0x8
	;; [unrolled: 2-line block ×5, first 2 shown]
	v_lshrrev_b32_e32 v154, 16, v146
	v_mul_f16_e32 v63, v59, v60
	v_mul_f16_e32 v60, v54, v60
	v_mul_f16_e64 v141, v61, v62
	v_mul_f16_e32 v62, v55, v62
	s_wait_loadcnt 0x4
	v_lshrrev_b32_e32 v155, 16, v147
	v_fma_f16 v54, v54, v56, -v63
	v_fmac_f16_e32 v60, v59, v56
	v_fma_f16 v55, v55, v58, -v141
	v_fmac_f16_e32 v62, v61, v58
	v_add_nc_u32_e32 v141, 0x1200, v64
	s_wait_loadcnt 0x3
	v_lshrrev_b32_e32 v156, 16, v148
	v_pack_b32_f16 v56, v54, v60
	v_add_nc_u32_e32 v54, 0x400, v64
	v_pack_b32_f16 v58, v55, v62
	v_add_nc_u32_e32 v55, 0x800, v64
	s_wait_loadcnt 0x2
	v_lshrrev_b32_e32 v157, 16, v149
	s_wait_loadcnt 0x1
	v_lshrrev_b32_e32 v158, 16, v150
	;; [unrolled: 2-line block ×3, first 2 shown]
	ds_store_2addr_b32 v64, v56, v58 offset1:144
	v_add_nc_u32_e32 v56, 0xc00, v64
	ds_load_2addr_b32 v[58:59], v54 offset0:32 offset1:176
	ds_load_2addr_b32 v[60:61], v55 offset0:64 offset1:208
	ds_load_2addr_b32 v[142:143], v141 offset1:144
	ds_load_2addr_b32 v[62:63], v56 offset0:96 offset1:240
	s_wait_dscnt 0x3
	v_lshrrev_b32_e32 v160, 16, v58
	v_lshrrev_b32_e32 v162, 16, v59
	s_wait_dscnt 0x2
	v_lshrrev_b32_e32 v164, 16, v60
	v_lshrrev_b32_e32 v166, 16, v61
	;; [unrolled: 3-line block ×3, first 2 shown]
	v_lshrrev_b32_e32 v172, 16, v142
	v_lshrrev_b32_e32 v174, 16, v143
	v_mul_f16_e64 v161, v58, v152
	v_mul_f16_e64 v163, v59, v153
	;; [unrolled: 1-line block ×16, first 2 shown]
	v_fmac_f16_e64 v161, v160, v144
	v_fmac_f16_e64 v163, v162, v145
	v_fma_f16 v58, v58, v144, -v152
	v_fma_f16 v59, v59, v145, -v153
	v_fmac_f16_e64 v165, v164, v146
	v_fmac_f16_e64 v167, v166, v147
	v_fma_f16 v60, v60, v146, -v154
	v_fma_f16 v61, v61, v147, -v155
	;; [unrolled: 4-line block ×4, first 2 shown]
	v_pack_b32_f16 v58, v58, v161
	v_pack_b32_f16 v59, v59, v163
	;; [unrolled: 1-line block ×8, first 2 shown]
	ds_store_2addr_b32 v54, v58, v59 offset0:32 offset1:176
	ds_store_2addr_b32 v55, v60, v61 offset0:64 offset1:208
	;; [unrolled: 1-line block ×3, first 2 shown]
	ds_store_2addr_b32 v141, v142, v143 offset1:144
	s_and_saveexec_b32 s1, vcc_lo
	s_cbranch_execz .LBB0_17
; %bb.16:
	s_wait_alu 0xfffe
	v_add_co_u32 v57, s2, s2, v57
	s_wait_alu 0xf1ff
	v_add_co_ci_u32_e64 v58, null, s3, 0, s2
	v_add_nc_u32_e32 v155, 0x500, v64
	v_add_nc_u32_e32 v156, 0xa00, v64
	v_add_nc_u32_e32 v157, 0xe00, v64
	s_clause 0x9
	global_load_b32 v63, v[57:58], off offset:360
	global_load_b32 v146, v[57:58], off offset:936
	;; [unrolled: 1-line block ×10, first 2 shown]
	ds_load_2addr_b32 v[57:58], v64 offset0:90 offset1:234
	ds_load_2addr_b32 v[59:60], v141 offset0:90 offset1:234
	;; [unrolled: 1-line block ×5, first 2 shown]
	s_wait_dscnt 0x2
	v_lshrrev_b32_e32 v162, 16, v61
	v_lshrrev_b32_e32 v158, 16, v57
	;; [unrolled: 1-line block ×4, first 2 shown]
	s_wait_dscnt 0x1
	v_lshrrev_b32_e32 v164, 16, v142
	v_lshrrev_b32_e32 v165, 16, v143
	s_wait_dscnt 0x0
	v_lshrrev_b32_e32 v166, 16, v144
	v_lshrrev_b32_e32 v167, 16, v145
	v_lshrrev_b32_e32 v160, 16, v59
	v_lshrrev_b32_e32 v161, 16, v60
	s_wait_loadcnt 0x9
	v_lshrrev_b32_e32 v168, 16, v63
	s_wait_loadcnt 0x8
	v_lshrrev_b32_e32 v169, 16, v146
	;; [unrolled: 2-line block ×10, first 2 shown]
	v_mul_f16_e64 v178, v158, v168
	v_mul_f16_e64 v168, v57, v168
	v_mul_f16_e64 v179, v159, v169
	v_mul_f16_e64 v169, v58, v169
	v_mul_f16_e64 v180, v162, v170
	v_mul_f16_e64 v170, v61, v170
	v_mul_f16_e64 v181, v163, v171
	v_mul_f16_e64 v171, v62, v171
	v_mul_f16_e64 v182, v164, v172
	v_mul_f16_e64 v172, v142, v172
	v_mul_f16_e64 v183, v165, v173
	v_mul_f16_e64 v173, v143, v173
	v_mul_f16_e64 v184, v166, v174
	v_mul_f16_e64 v174, v144, v174
	v_mul_f16_e64 v185, v167, v175
	v_mul_f16_e64 v175, v145, v175
	v_mul_f16_e64 v186, v160, v176
	v_mul_f16_e64 v176, v59, v176
	v_mul_f16_e64 v187, v161, v177
	v_mul_f16_e64 v177, v60, v177
	v_fma_f16 v57, v57, v63, -v178
	v_fmac_f16_e64 v168, v158, v63
	v_fma_f16 v58, v58, v146, -v179
	v_fmac_f16_e64 v169, v159, v146
	;; [unrolled: 2-line block ×10, first 2 shown]
	v_pack_b32_f16 v57, v57, v168
	v_pack_b32_f16 v58, v58, v169
	;; [unrolled: 1-line block ×10, first 2 shown]
	ds_store_2addr_b32 v64, v57, v58 offset0:90 offset1:234
	ds_store_2addr_b32 v155, v61, v62 offset0:58 offset1:202
	;; [unrolled: 1-line block ×5, first 2 shown]
.LBB0_17:
	s_wait_alu 0xfffe
	s_or_b32 exec_lo, exec_lo, s1
	global_wb scope:SCOPE_SE
	s_wait_dscnt 0x0
	s_barrier_signal -1
	s_barrier_wait -1
	global_inv scope:SCOPE_SE
	ds_load_2addr_b32 v[62:63], v64 offset1:144
	ds_load_2addr_b32 v[60:61], v54 offset0:32 offset1:176
	ds_load_2addr_b32 v[58:59], v55 offset0:64 offset1:208
	;; [unrolled: 1-line block ×3, first 2 shown]
	ds_load_2addr_b32 v[54:55], v141 offset1:144
	s_and_saveexec_b32 s1, vcc_lo
	s_cbranch_execz .LBB0_19
; %bb.18:
	v_add_nc_u32_e32 v20, 0x500, v64
	v_add_nc_u32_e32 v21, 0xa00, v64
	;; [unrolled: 1-line block ×3, first 2 shown]
	ds_load_2addr_b32 v[48:49], v64 offset0:90 offset1:234
	ds_load_2addr_b32 v[52:53], v20 offset0:58 offset1:202
	v_add_nc_u32_e32 v20, 0x1200, v64
	ds_load_2addr_b32 v[50:51], v21 offset0:26 offset1:170
	ds_load_2addr_b32 v[46:47], v46 offset0:58 offset1:202
	;; [unrolled: 1-line block ×3, first 2 shown]
	s_wait_dscnt 0x4
	v_lshrrev_b32_e32 v138, 16, v48
	v_lshrrev_b32_e32 v134, 16, v49
	s_wait_dscnt 0x3
	v_lshrrev_b32_e32 v136, 16, v52
	v_lshrrev_b32_e32 v137, 16, v53
	;; [unrolled: 3-line block ×5, first 2 shown]
.LBB0_19:
	s_wait_alu 0xfffe
	s_or_b32 exec_lo, exec_lo, s1
	s_wait_dscnt 0x1
	v_add_f16_e64 v141, v58, v56
	v_lshrrev_b32_e32 v142, 16, v60
	s_wait_dscnt 0x0
	v_lshrrev_b32_e32 v143, 16, v54
	v_lshrrev_b32_e32 v144, 16, v58
	v_lshrrev_b32_e32 v145, 16, v56
	v_fma_f16 v141, -0.5, v141, v62
	v_add_f16_e64 v148, v60, v54
	v_sub_f16_e64 v146, v142, v143
	v_sub_f16_e64 v149, v54, v56
	v_sub_f16_e64 v147, v144, v145
	v_sub_f16_e64 v150, v60, v58
	v_fma_f16 v148, -0.5, v148, v62
	v_fma_f16 v151, 0xbb9c, v146, v141
	v_fmac_f16_e64 v141, 0x3b9c, v146
	v_pk_add_f16 v168, v62, v60
	v_add_f16_e64 v149, v150, v149
	v_add_f16_e64 v154, v144, v145
	v_fmac_f16_e64 v151, 0xb8b4, v147
	v_lshrrev_b32_e32 v62, 16, v62
	v_fmac_f16_e64 v141, 0x38b4, v147
	v_fma_f16 v150, 0x3b9c, v147, v148
	v_sub_f16_e64 v152, v56, v54
	v_sub_f16_e64 v153, v58, v60
	v_fmac_f16_e64 v148, 0xbb9c, v147
	v_fma_f16 v147, -0.5, v154, v62
	v_sub_f16_e32 v60, v60, v54
	v_fmac_f16_e64 v151, 0x34f2, v149
	v_fmac_f16_e64 v141, 0x34f2, v149
	v_add_f16_e64 v149, v142, v143
	v_fmac_f16_e64 v150, 0xb8b4, v146
	v_add_f16_e64 v152, v153, v152
	v_fmac_f16_e64 v148, 0x38b4, v146
	v_fma_f16 v146, 0x3b9c, v60, v147
	v_sub_f16_e64 v153, v58, v56
	v_sub_f16_e64 v154, v142, v144
	;; [unrolled: 1-line block ×3, first 2 shown]
	v_fmac_f16_e64 v147, 0xbb9c, v60
	v_fmac_f16_e64 v62, -0.5, v149
	v_sub_f16_e64 v142, v144, v142
	v_sub_f16_e64 v143, v145, v143
	v_fmac_f16_e64 v150, 0x34f2, v152
	v_fmac_f16_e64 v148, 0x34f2, v152
	;; [unrolled: 1-line block ×3, first 2 shown]
	v_add_f16_e64 v149, v154, v155
	v_fmac_f16_e64 v147, 0xb8b4, v153
	v_fma_f16 v152, 0xbb9c, v153, v62
	v_add_f16_e64 v154, v59, v57
	v_lshrrev_b32_e32 v157, 16, v59
	v_lshrrev_b32_e32 v158, 16, v57
	v_fmac_f16_e64 v62, 0x3b9c, v153
	v_sub_f16_e64 v153, v55, v57
	v_sub_f16_e64 v159, v61, v59
	v_add_f16_e64 v142, v142, v143
	v_add_f16_e64 v143, v61, v55
	v_lshrrev_b32_e32 v155, 16, v61
	v_lshrrev_b32_e32 v156, 16, v55
	v_fmac_f16_e64 v146, 0x34f2, v149
	v_fmac_f16_e64 v147, 0x34f2, v149
	;; [unrolled: 1-line block ×3, first 2 shown]
	v_fma_f16 v149, -0.5, v154, v63
	v_fmac_f16_e32 v62, 0xb8b4, v60
	v_add_f16_e64 v60, v159, v153
	v_fma_f16 v143, -0.5, v143, v63
	v_pk_add_f16 v169, v63, v61
	v_add_f16_e64 v153, v157, v158
	v_lshrrev_b32_e32 v63, 16, v63
	v_sub_f16_e64 v159, v57, v55
	v_sub_f16_e64 v160, v59, v61
	v_add_f16_e64 v161, v155, v156
	v_sub_f16_e32 v61, v61, v55
	v_fma_f16 v153, -0.5, v153, v63
	v_sub_f16_e64 v154, v155, v156
	v_add_f16_e64 v159, v160, v159
	v_sub_f16_e64 v160, v59, v57
	v_fmac_f16_e64 v63, -0.5, v161
	v_fma_f16 v161, 0x3b9c, v61, v153
	v_sub_f16_e64 v162, v155, v157
	v_sub_f16_e64 v163, v156, v158
	v_fma_f16 v144, 0xbb9c, v154, v149
	v_sub_f16_e64 v145, v157, v158
	v_sub_f16_e64 v155, v157, v155
	v_fmac_f16_e64 v161, 0x38b4, v160
	v_add_f16_e64 v157, v162, v163
	v_fma_f16 v164, 0xbb9c, v160, v63
	v_fmac_f16_e64 v144, 0xb8b4, v145
	v_sub_f16_e64 v156, v158, v156
	v_fmac_f16_e64 v63, 0x3b9c, v160
	v_fmac_f16_e64 v161, 0x34f2, v157
	;; [unrolled: 1-line block ×5, first 2 shown]
	v_fma_f16 v142, 0x3b9c, v145, v143
	v_fmac_f16_e64 v143, 0xbb9c, v145
	v_fmac_f16_e64 v164, 0x38b4, v61
	v_add_f16_e64 v155, v155, v156
	v_fmac_f16_e32 v63, 0xb8b4, v61
	v_fmac_f16_e64 v153, 0xbb9c, v61
	v_mul_f16_e64 v61, 0xb8b4, v161
	v_fmac_f16_e64 v149, 0x3b9c, v154
	v_fmac_f16_e64 v143, 0x38b4, v154
	;; [unrolled: 1-line block ×5, first 2 shown]
	v_mul_f16_e64 v144, 0x38b4, v144
	v_fmac_f16_e64 v164, 0x34f2, v155
	v_fmac_f16_e64 v143, 0x34f2, v159
	v_mul_f16_e64 v155, 0xbb9c, v63
	v_fmac_f16_e64 v149, 0x38b4, v145
	v_fmac_f16_e64 v153, 0x34f2, v157
	;; [unrolled: 1-line block ×6, first 2 shown]
	v_mul_f16_e64 v60, 0xb8b4, v153
	v_mul_f16_e64 v153, 0xba79, v153
	v_add_f16_e64 v173, v146, v144
	v_sub_f16_e64 v182, v146, v144
	v_sub_f16_e64 v144, v50, v52
	;; [unrolled: 1-line block ×3, first 2 shown]
	v_add_f16_e64 v171, v148, v155
	v_fmac_f16_e64 v153, 0x38b4, v149
	v_sub_f16_e64 v180, v148, v155
	v_fmac_f16_e64 v60, 0xba79, v149
	v_add_f16_e64 v155, v146, v144
	v_add_f16_e64 v144, v47, v51
	;; [unrolled: 1-line block ×3, first 2 shown]
	v_sub_f16_e64 v185, v147, v153
	v_sub_f16_e64 v146, v136, v135
	;; [unrolled: 1-line block ×3, first 2 shown]
	v_fma_f16 v153, -0.5, v144, v49
	v_sub_f16_e64 v144, v89, v140
	v_sub_f16_e64 v156, v140, v89
	v_fmac_f16_e64 v142, 0x34f2, v159
	v_mul_f16_e64 v154, 0xbb9c, v164
	v_mul_f16_e64 v145, 0x34f2, v164
	v_add_f16_e64 v160, v144, v146
	v_add_f16_e64 v146, v21, v53
	v_mul_f16_e32 v63, 0xb4f2, v63
	v_add_f16_e64 v144, v133, v139
	v_add_f16_e64 v161, v156, v149
	v_fmac_f16_e64 v154, 0x34f2, v142
	v_fma_f16 v156, -0.5, v146, v49
	v_add_f16_e64 v146, v88, v137
	v_fmac_f16_e64 v145, 0x3b9c, v142
	v_fmac_f16_e64 v63, 0x3b9c, v143
	v_add_f16_e64 v142, v140, v135
	v_fma_f16 v162, -0.5, v144, v134
	v_sub_f16_e64 v158, v53, v21
	v_sub_f16_e64 v144, v53, v51
	;; [unrolled: 1-line block ×4, first 2 shown]
	v_fma_f16 v159, -0.5, v146, v134
	v_add_f16_e64 v172, v151, v61
	v_add_f16_e64 v170, v150, v154
	;; [unrolled: 1-line block ×5, first 2 shown]
	v_sub_f16_e64 v178, v151, v61
	v_sub_f16_e64 v179, v150, v154
	v_add_f16_e32 v61, v46, v50
	v_sub_f16_e64 v181, v141, v60
	v_sub_f16_e64 v183, v152, v145
	v_add_f16_e32 v60, v20, v52
	v_sub_f16_e64 v184, v62, v63
	v_sub_f16_e32 v63, v52, v50
	v_sub_f16_e64 v143, v20, v46
	v_fma_f16 v145, -0.5, v142, v138
	v_add_f16_e64 v142, v89, v136
	v_sub_f16_e64 v151, v137, v88
	v_sub_f16_e64 v154, v139, v133
	v_fma_f16 v187, 0x3b9c, v158, v162
	v_sub_f16_e64 v163, v137, v139
	v_sub_f16_e64 v165, v88, v133
	v_add_f16_e64 v166, v149, v144
	v_fma_f16 v189, 0xbb9c, v164, v159
	v_sub_f16_e64 v144, v139, v137
	v_sub_f16_e64 v146, v133, v88
	v_fma_f16 v141, -0.5, v61, v48
	v_sub_f16_e64 v148, v136, v89
	v_sub_f16_e64 v150, v135, v140
	v_fma_f16 v62, -0.5, v60, v48
	v_sub_f16_e64 v147, v52, v20
	v_add_f16_e64 v157, v143, v63
	v_sub_f16_e64 v152, v50, v46
	v_fma_f16 v143, -0.5, v142, v138
	v_fma_f16 v186, 0xbb9c, v151, v153
	v_fma_f16 v188, 0x3b9c, v154, v156
	v_fmac_f16_e64 v187, 0x38b4, v164
	v_add_f16_e64 v167, v165, v163
	v_sub_f16_e64 v149, v51, v53
	v_sub_f16_e64 v165, v47, v21
	v_fmac_f16_e64 v189, 0x38b4, v158
	v_add_f16_e64 v163, v146, v144
	v_fma_f16 v60, 0xbb9c, v148, v141
	v_fma_f16 v61, 0x3b9c, v150, v62
	;; [unrolled: 1-line block ×4, first 2 shown]
	v_fmac_f16_e64 v186, 0xb8b4, v154
	v_fmac_f16_e64 v187, 0x34f2, v167
	;; [unrolled: 1-line block ×3, first 2 shown]
	v_add_f16_e64 v165, v165, v149
	v_fmac_f16_e64 v189, 0x34f2, v163
	v_pk_add_f16 v168, v168, v58
	v_pk_add_f16 v59, v169, v59
	v_fmac_f16_e64 v60, 0xb8b4, v150
	v_fmac_f16_e64 v61, 0xb8b4, v148
	;; [unrolled: 1-line block ×5, first 2 shown]
	v_mul_f16_e64 v144, 0xb8b4, v187
	v_fmac_f16_e64 v188, 0x34f2, v165
	v_mul_f16_e64 v146, 0xbb9c, v189
	v_mul_f16_e64 v149, 0x3a79, v187
	;; [unrolled: 1-line block ×3, first 2 shown]
	v_pk_add_f16 v168, v168, v56
	v_pk_add_f16 v59, v59, v57
	v_fmac_f16_e64 v60, 0x34f2, v157
	v_fmac_f16_e64 v61, 0x34f2, v155
	;; [unrolled: 1-line block ×8, first 2 shown]
	v_pk_add_f16 v186, v168, v54
	v_pk_add_f16 v59, v59, v55
	v_sub_f16_e64 v57, v60, v144
	v_sub_f16_e64 v56, v61, v146
	;; [unrolled: 1-line block ×4, first 2 shown]
	v_pk_add_f16 v168, v186, v59
	v_pack_b32_f16 v171, v171, v175
	v_pack_b32_f16 v170, v170, v174
	;; [unrolled: 1-line block ×3, first 2 shown]
	v_pk_add_f16 v173, v186, v59 neg_lo:[0,1] neg_hi:[0,1]
	v_pack_b32_f16 v175, v179, v183
	v_pack_b32_f16 v174, v178, v182
	;; [unrolled: 1-line block ×5, first 2 shown]
	global_wb scope:SCOPE_SE
	s_barrier_signal -1
	s_barrier_wait -1
	global_inv scope:SCOPE_SE
	ds_store_2addr_b64 v90, v[168:169], v[170:171] offset1:1
	ds_store_2addr_b64 v90, v[172:173], v[174:175] offset0:2 offset1:3
	ds_store_b64 v90, v[176:177] offset:32
	s_and_saveexec_b32 s1, vcc_lo
	s_cbranch_execz .LBB0_21
; %bb.20:
	v_mul_f16_e64 v168, 0x3b9c, v147
	v_mul_f16_e64 v170, 0x3b9c, v158
	;; [unrolled: 1-line block ×6, first 2 shown]
	v_sub_f16_e64 v162, v162, v170
	v_mul_f16_e64 v170, 0x38b4, v154
	v_sub_f16_e64 v145, v145, v168
	v_mul_f16_e64 v154, 0x3b9c, v154
	v_mul_f16_e64 v158, 0x38b4, v158
	v_add_f16_e64 v159, v164, v159
	v_mul_f16_e64 v90, 0x38b4, v150
	v_mul_f16_e64 v150, 0x3b9c, v150
	;; [unrolled: 1-line block ×5, first 2 shown]
	v_add_f16_e64 v153, v171, v153
	v_sub_f16_e64 v162, v162, v172
	v_sub_f16_e64 v145, v145, v169
	v_mul_f16_e64 v151, 0x38b4, v151
	v_mul_f16_e64 v163, 0x34f2, v163
	v_sub_f16_e64 v154, v156, v154
	v_sub_f16_e64 v156, v159, v158
	v_add_f16_e64 v136, v136, v138
	v_add_f16_e64 v134, v137, v134
	v_add_f16_e32 v48, v52, v48
	v_add_f16_e32 v49, v53, v49
	v_mul_f16_e64 v59, 0x3b9c, v148
	v_mul_f16_e64 v148, 0x38b4, v148
	;; [unrolled: 1-line block ×4, first 2 shown]
	v_add_f16_e64 v153, v170, v153
	v_add_f16_e64 v162, v167, v162
	;; [unrolled: 1-line block ×3, first 2 shown]
	v_mul_f16_e64 v160, 0x34f2, v165
	v_add_f16_e64 v138, v152, v143
	v_add_f16_e64 v143, v151, v154
	;; [unrolled: 1-line block ×5, first 2 shown]
	v_sub_f16_e64 v53, v62, v150
	v_add_f16_e32 v48, v50, v48
	v_add_f16_e32 v49, v51, v49
	v_add_f16_e64 v59, v59, v141
	v_mul_f16_e64 v155, 0x34f2, v155
	v_mul_f16_e64 v161, 0x34f2, v161
	v_add_f16_e64 v153, v166, v153
	v_sub_f16_e64 v136, v138, v147
	v_add_f16_e64 v137, v160, v143
	v_mul_f16_e64 v138, 0xb4f2, v151
	v_add_f16_e64 v135, v140, v135
	v_add_f16_e64 v133, v133, v134
	v_mul_f16_e64 v50, 0x38b4, v162
	v_add_f16_e64 v51, v148, v53
	v_mul_f16_e64 v53, 0x3b9c, v151
	v_add_f16_e32 v46, v46, v48
	v_add_f16_e32 v47, v47, v49
	v_mul_f16_e64 v157, 0x34f2, v157
	v_mul_f16_e64 v166, 0xba79, v162
	v_add_f16_e32 v59, v90, v59
	v_add_f16_e64 v136, v161, v136
	v_fmac_f16_e64 v138, 0x3b9c, v137
	v_add_f16_e64 v89, v89, v135
	v_add_f16_e64 v52, v88, v133
	v_fma_f16 v48, v153, 0xba79, -v50
	v_add_f16_e64 v49, v155, v51
	v_fma_f16 v50, v137, 0xb4f2, -v53
	v_add_f16_e32 v20, v20, v46
	v_add_f16_e32 v21, v21, v47
	v_fmac_f16_e64 v166, 0x38b4, v153
	v_add_f16_e64 v59, v157, v59
	v_sub_f16_e32 v88, v49, v50
	v_add_f16_e64 v46, v136, v138
	v_sub_f16_e32 v90, v20, v21
	v_add_f16_e64 v58, v142, v58
	v_add_f16_e64 v63, v63, v149
	v_add_f16_e32 v47, v52, v89
	v_add_f16_e32 v20, v21, v20
	v_add_f16_e32 v21, v49, v50
	v_add_f16_e64 v49, v61, v146
	v_add_f16_e64 v50, v60, v144
	v_sub_f16_e32 v51, v89, v52
	v_sub_f16_e32 v53, v59, v48
	v_add_f16_e64 v133, v145, v166
	v_add_f16_e32 v48, v59, v48
	v_sub_f16_e64 v158, v145, v166
	v_sub_f16_e64 v62, v136, v138
	v_lshlrev_b32_e32 v59, 2, v87
	v_pack_b32_f16 v20, v20, v47
	v_pack_b32_f16 v47, v21, v46
	;; [unrolled: 1-line block ×6, first 2 shown]
	v_perm_b32 v51, v54, v56, 0x5040100
	v_perm_b32 v50, v55, v57, 0x5040100
	v_pack_b32_f16 v53, v53, v158
	v_pack_b32_f16 v52, v88, v62
	ds_store_2addr_b64 v59, v[20:21], v[46:47] offset1:1
	ds_store_2addr_b64 v59, v[48:49], v[50:51] offset0:2 offset1:3
	ds_store_b64 v59, v[52:53] offset:32
.LBB0_21:
	s_wait_alu 0xfffe
	s_or_b32 exec_lo, exec_lo, s1
	v_add_nc_u32_e32 v87, 0x200, v64
	global_wb scope:SCOPE_SE
	s_wait_dscnt 0x0
	s_barrier_signal -1
	s_barrier_wait -1
	global_inv scope:SCOPE_SE
	ds_load_2addr_b32 v[20:21], v64 offset1:90
	ds_load_2addr_b32 v[46:47], v87 offset0:52 offset1:142
	v_add_nc_u32_e32 v88, 0x400, v64
	v_add_nc_u32_e32 v89, 0x800, v64
	;; [unrolled: 1-line block ×5, first 2 shown]
	ds_load_2addr_b32 v[48:49], v88 offset0:104 offset1:194
	ds_load_2addr_b32 v[50:51], v89 offset0:28 offset1:118
	;; [unrolled: 1-line block ×4, first 2 shown]
	v_add_nc_u32_e32 v62, 0x1200, v64
	ds_load_2addr_b32 v[60:61], v133 offset0:56 offset1:146
	ds_load_2addr_b32 v[62:63], v62 offset0:108 offset1:198
	global_wb scope:SCOPE_SE
	s_wait_dscnt 0x0
	s_barrier_signal -1
	s_barrier_wait -1
	global_inv scope:SCOPE_SE
	v_lshrrev_b32_e32 v135, 16, v21
	v_lshrrev_b32_e32 v136, 16, v46
	;; [unrolled: 1-line block ×4, first 2 shown]
	s_delay_alu instid0(VALU_DEP_4)
	v_mul_f16_e64 v148, v108, v135
	v_mul_f16_e32 v108, v108, v21
	v_lshrrev_b32_e32 v138, 16, v48
	v_mul_f16_e64 v151, v107, v136
	v_lshrrev_b32_e32 v139, 16, v49
	v_fmac_f16_e64 v148, v8, v21
	v_mul_f16_e32 v21, v107, v46
	v_mul_f16_e64 v107, v106, v137
	v_lshrrev_b32_e32 v140, 16, v50
	v_fmac_f16_e64 v151, v9, v46
	v_mul_f16_e32 v46, v106, v47
	v_fma_f16 v9, v9, v136, -v21
	v_fmac_f16_e32 v107, v10, v47
	v_mul_f16_e64 v21, v105, v138
	v_mul_f16_e32 v47, v105, v48
	v_lshrrev_b32_e32 v141, 16, v51
	v_lshrrev_b32_e32 v142, 16, v52
	v_fma_f16 v10, v10, v137, -v46
	v_mul_f16_e64 v46, v104, v139
	v_fmac_f16_e32 v21, v11, v48
	v_fma_f16 v11, v11, v138, -v47
	v_mul_f16_e64 v47, v103, v140
	v_mul_f16_e32 v48, v103, v50
	v_lshrrev_b32_e32 v143, 16, v53
	v_lshrrev_b32_e32 v144, 16, v58
	v_mul_f16_e32 v104, v104, v49
	v_fmac_f16_e32 v46, v4, v49
	v_mul_f16_e64 v49, v102, v141
	v_fmac_f16_e32 v47, v5, v50
	v_mul_f16_e32 v50, v102, v51
	v_mul_f16_e64 v102, v101, v142
	v_fma_f16 v5, v5, v140, -v48
	v_mul_f16_e32 v48, v101, v52
	v_lshrrev_b32_e32 v146, 16, v60
	v_fmac_f16_e32 v49, v6, v51
	v_fma_f16 v6, v6, v141, -v50
	v_fmac_f16_e32 v102, v7, v52
	v_mul_f16_e64 v50, v100, v143
	v_fma_f16 v7, v7, v142, -v48
	v_mul_f16_e64 v48, v99, v144
	v_lshrrev_b32_e32 v145, 16, v59
	v_lshrrev_b32_e32 v149, 16, v62
	v_mul_f16_e32 v51, v100, v53
	v_mul_f16_e32 v52, v99, v58
	v_fmac_f16_e32 v50, v0, v53
	v_fmac_f16_e32 v48, v1, v58
	v_mul_f16_e64 v53, v97, v146
	v_mul_f16_e32 v58, v97, v60
	v_lshrrev_b32_e32 v147, 16, v61
	v_fma_f16 v0, v0, v143, -v51
	v_mul_f16_e64 v51, v98, v145
	v_fma_f16 v1, v1, v144, -v52
	v_mul_f16_e32 v52, v98, v59
	v_fmac_f16_e32 v53, v3, v60
	v_fma_f16 v3, v3, v146, -v58
	v_mul_f16_e64 v58, v93, v149
	v_mul_f16_e32 v60, v93, v62
	v_lshrrev_b32_e32 v150, 16, v63
	v_fmac_f16_e32 v51, v2, v59
	v_mul_f16_e64 v59, v95, v147
	v_fma_f16 v2, v2, v145, -v52
	v_mul_f16_e32 v52, v95, v61
	v_fmac_f16_e32 v58, v13, v62
	v_fma_f16 v13, v13, v149, -v60
	v_fmac_f16_e32 v59, v12, v61
	v_mul_f16_e32 v61, v92, v63
	v_fma_f16 v12, v12, v147, -v52
	v_mul_f16_e64 v52, v92, v150
	v_sub_f16_e32 v60, v20, v102
	v_sub_f16_e64 v7, v134, v7
	v_sub_f16_e32 v53, v21, v53
	v_sub_f16_e32 v3, v11, v3
	v_sub_f16_e64 v48, v151, v48
	v_sub_f16_e32 v1, v9, v1
	v_sub_f16_e32 v58, v47, v58
	;; [unrolled: 1-line block ×3, first 2 shown]
	v_fmac_f16_e32 v52, v14, v63
	v_fma_f16 v14, v14, v150, -v61
	v_fma_f16 v20, v20, 2.0, -v60
	v_fma_f16 v61, v134, 2.0, -v7
	;; [unrolled: 1-line block ×8, first 2 shown]
	v_fma_f16 v4, v4, v139, -v104
	v_sub_f16_e32 v21, v20, v21
	v_sub_f16_e32 v11, v61, v11
	v_add_f16_e32 v3, v60, v3
	v_sub_f16_e32 v47, v62, v47
	v_sub_f16_e32 v5, v9, v5
	v_add_f16_e32 v13, v48, v13
	v_fma_f16 v8, v8, v135, -v108
	v_sub_f16_e64 v50, v148, v50
	v_sub_f16_e32 v59, v46, v59
	v_sub_f16_e32 v12, v4, v12
	;; [unrolled: 1-line block ×7, first 2 shown]
	v_fma_f16 v20, v20, 2.0, -v21
	v_fma_f16 v61, v61, 2.0, -v11
	;; [unrolled: 1-line block ×4, first 2 shown]
	v_sub_f16_e32 v58, v1, v58
	v_fma_f16 v9, v9, 2.0, -v5
	v_fma_f16 v48, v48, 2.0, -v13
	v_sub_f16_e32 v0, v8, v0
	v_fma_f16 v63, v148, 2.0, -v50
	v_fma_f16 v46, v46, 2.0, -v59
	;; [unrolled: 1-line block ×8, first 2 shown]
	v_add_f16_e32 v12, v50, v12
	v_add_f16_e32 v14, v51, v14
	v_sub_f16_e32 v52, v2, v52
	v_fmamk_f16 v93, v48, 0xb9a8, v60
	v_sub_f16_e32 v62, v20, v62
	v_sub_f16_e32 v9, v61, v9
	v_fma_f16 v10, v10, 2.0, -v2
	v_sub_f16_e32 v46, v63, v46
	v_sub_f16_e32 v59, v0, v59
	;; [unrolled: 1-line block ×3, first 2 shown]
	v_fma_f16 v50, v50, 2.0, -v12
	v_fma_f16 v51, v51, 2.0, -v14
	v_fmamk_f16 v95, v1, 0xb9a8, v7
	v_fmac_f16_e32 v93, 0x39a8, v1
	v_fma_f16 v1, v2, 2.0, -v52
	v_fma_f16 v2, v20, 2.0, -v62
	;; [unrolled: 1-line block ×3, first 2 shown]
	v_fmamk_f16 v61, v58, 0x39a8, v53
	v_fma_f16 v8, v8, 2.0, -v0
	v_fma_f16 v63, v63, 2.0, -v46
	v_fma_f16 v0, v0, 2.0, -v59
	v_fma_f16 v92, v92, 2.0, -v49
	v_fmac_f16_e32 v95, 0xb9a8, v48
	v_fma_f16 v48, v60, 2.0, -v93
	v_fmamk_f16 v60, v13, 0x39a8, v3
	v_fmac_f16_e32 v61, 0xb9a8, v13
	v_fmamk_f16 v13, v51, 0xb9a8, v50
	v_sub_f16_e32 v6, v10, v6
	v_sub_f16_e32 v4, v8, v4
	v_fmac_f16_e32 v60, 0x39a8, v58
	v_sub_f16_e32 v58, v63, v92
	v_fmamk_f16 v92, v1, 0xb9a8, v0
	v_fmac_f16_e32 v13, 0x39a8, v1
	v_fma_f16 v10, v10, 2.0, -v6
	v_add_f16_e32 v5, v21, v5
	v_fma_f16 v1, v53, 2.0, -v61
	v_fma_f16 v53, v63, 2.0, -v58
	v_fmac_f16_e32 v92, 0xb9a8, v51
	v_fma_f16 v50, v50, 2.0, -v13
	v_fmamk_f16 v51, v14, 0x39a8, v12
	v_add_f16_e32 v6, v46, v6
	v_fmamk_f16 v63, v52, 0x39a8, v59
	v_fma_f16 v8, v8, 2.0, -v4
	v_sub_f16_e32 v47, v11, v47
	v_fma_f16 v7, v7, 2.0, -v95
	v_fma_f16 v21, v21, 2.0, -v5
	v_sub_f16_e32 v49, v4, v49
	v_fma_f16 v0, v0, 2.0, -v92
	v_fmac_f16_e32 v51, 0x39a8, v52
	v_fma_f16 v46, v46, 2.0, -v6
	v_fmac_f16_e32 v63, 0xb9a8, v14
	v_sub_f16_e32 v52, v2, v53
	v_fmamk_f16 v53, v50, 0xbb64, v48
	v_fma_f16 v11, v11, 2.0, -v47
	v_sub_f16_e32 v10, v8, v10
	v_fma_f16 v4, v4, 2.0, -v49
	v_fma_f16 v14, v59, 2.0, -v63
	v_fmamk_f16 v59, v0, 0xbb64, v7
	v_fmac_f16_e32 v53, 0x361f, v0
	v_fmamk_f16 v0, v46, 0xb9a8, v21
	v_fma_f16 v3, v3, 2.0, -v60
	v_fma_f16 v8, v8, 2.0, -v10
	;; [unrolled: 1-line block ×3, first 2 shown]
	v_fmamk_f16 v98, v4, 0xb9a8, v11
	v_fmac_f16_e32 v0, 0x39a8, v4
	v_fmamk_f16 v4, v14, 0xb61f, v1
	v_sub_f16_e32 v8, v20, v8
	v_fmac_f16_e32 v59, 0xb61f, v50
	v_fmamk_f16 v50, v12, 0xb61f, v3
	v_fmac_f16_e32 v98, 0xb9a8, v46
	v_fmac_f16_e32 v4, 0xbb64, v12
	v_sub_f16_e32 v12, v9, v58
	v_fmamk_f16 v46, v13, 0x361f, v93
	v_fmamk_f16 v58, v92, 0x361f, v95
	v_fma_f16 v97, v20, 2.0, -v8
	v_fmac_f16_e32 v50, 0x3b64, v14
	v_fmamk_f16 v14, v51, 0x3b64, v60
	v_fmac_f16_e32 v46, 0x3b64, v92
	v_fmac_f16_e32 v58, 0xbb64, v13
	v_fmamk_f16 v13, v6, 0x39a8, v5
	v_fmamk_f16 v92, v49, 0x39a8, v47
	;; [unrolled: 1-line block ×3, first 2 shown]
	v_add_f16_e32 v10, v62, v10
	v_fma_f16 v2, v2, 2.0, -v52
	v_fma_f16 v48, v48, 2.0, -v53
	v_fma_f16 v7, v7, 2.0, -v59
	v_fmac_f16_e32 v13, 0x39a8, v49
	v_fmac_f16_e32 v92, 0xb9a8, v6
	;; [unrolled: 1-line block ×4, first 2 shown]
	v_fma_f16 v21, v21, 2.0, -v0
	v_fma_f16 v11, v11, 2.0, -v98
	;; [unrolled: 1-line block ×12, first 2 shown]
	v_pack_b32_f16 v2, v2, v97
	v_pack_b32_f16 v7, v48, v7
	;; [unrolled: 1-line block ×6, first 2 shown]
	ds_store_2addr_b32 v86, v2, v7 offset1:10
	ds_store_2addr_b32 v86, v11, v1 offset0:20 offset1:30
	ds_store_2addr_b32 v86, v3, v6 offset0:40 offset1:50
	v_pack_b32_f16 v1, v5, v47
	v_pack_b32_f16 v2, v49, v51
	;; [unrolled: 1-line block ×10, first 2 shown]
	ds_store_2addr_b32 v86, v1, v2 offset0:60 offset1:70
	ds_store_2addr_b32 v86, v3, v5 offset0:80 offset1:90
	;; [unrolled: 1-line block ×5, first 2 shown]
	v_add_nc_u32_e32 v2, 0xe00, v64
	global_wb scope:SCOPE_SE
	s_wait_dscnt 0x0
	s_barrier_signal -1
	s_barrier_wait -1
	global_inv scope:SCOPE_SE
	ds_load_2addr_b32 v[4:5], v64 offset1:90
	ds_load_2addr_b32 v[0:1], v88 offset0:104 offset1:224
	ds_load_2addr_b32 v[12:13], v2 offset0:64 offset1:154
	;; [unrolled: 1-line block ×6, first 2 shown]
	ds_load_b32 v21, v64 offset:5280
	s_and_saveexec_b32 s1, s0
	s_cbranch_execz .LBB0_23
; %bb.22:
	ds_load_b32 v14, v64 offset:1800
	ds_load_b32 v57, v64 offset:3720
	;; [unrolled: 1-line block ×3, first 2 shown]
	s_wait_dscnt 0x2
	v_lshrrev_b32_e32 v20, 16, v14
	s_wait_dscnt 0x1
	v_lshrrev_b32_e32 v55, 16, v57
	;; [unrolled: 2-line block ×3, first 2 shown]
.LBB0_23:
	s_wait_alu 0xfffe
	s_or_b32 exec_lo, exec_lo, s1
	s_wait_dscnt 0x6
	v_lshrrev_b32_e32 v47, 16, v1
	s_wait_dscnt 0x5
	v_lshrrev_b32_e32 v48, 16, v12
	;; [unrolled: 2-line block ×3, first 2 shown]
	v_lshrrev_b32_e32 v51, 16, v13
	v_mul_f16_e64 v87, v128, v1
	v_mul_f16_e64 v63, v128, v47
	v_mul_f16_e32 v89, v125, v48
	v_lshrrev_b32_e32 v53, 16, v11
	s_wait_dscnt 0x2
	v_lshrrev_b32_e32 v58, 16, v8
	s_wait_dscnt 0x1
	v_lshrrev_b32_e32 v60, 16, v6
	v_fmac_f16_e32 v63, v22, v1
	v_mul_f16_e32 v1, v125, v12
	v_fma_f16 v22, v22, v47, -v87
	v_mul_f16_e32 v47, v126, v50
	v_fmac_f16_e32 v89, v23, v12
	v_mul_f16_e32 v12, v126, v10
	v_fma_f16 v1, v23, v48, -v1
	v_mul_f16_e32 v23, v122, v51
	v_fmac_f16_e32 v47, v28, v10
	v_mul_f16_e32 v10, v122, v13
	v_fma_f16 v12, v28, v50, -v12
	v_mul_f16_e64 v28, v132, v53
	v_fmac_f16_e32 v23, v29, v13
	v_mul_f16_e64 v13, v132, v11
	v_lshrrev_b32_e32 v61, 16, v9
	v_fma_f16 v10, v29, v51, -v10
	v_mul_f16_e64 v29, v131, v58
	v_fmac_f16_e32 v28, v34, v11
	v_mul_f16_e64 v11, v131, v8
	v_fma_f16 v13, v34, v53, -v13
	v_mul_f16_e64 v34, v130, v60
	v_lshrrev_b32_e32 v86, 16, v7
	s_wait_dscnt 0x0
	v_lshrrev_b32_e32 v88, 16, v21
	v_fmac_f16_e32 v29, v35, v8
	v_mul_f16_e64 v8, v130, v6
	v_fma_f16 v11, v35, v58, -v11
	v_mul_f16_e64 v35, v129, v61
	v_fmac_f16_e32 v34, v32, v6
	v_mul_f16_e64 v6, v129, v9
	v_fma_f16 v8, v32, v60, -v8
	v_mul_f16_e32 v32, v127, v86
	v_fmac_f16_e32 v35, v33, v9
	v_mul_f16_e32 v9, v127, v7
	v_fma_f16 v6, v33, v61, -v6
	v_mul_f16_e32 v33, v124, v88
	v_fmac_f16_e32 v32, v30, v7
	v_mul_f16_e32 v7, v124, v21
	;; [unrolled: 4-line block ×3, first 2 shown]
	v_lshrrev_b32_e32 v46, 16, v4
	v_fma_f16 v7, v31, v88, -v7
	v_mul_f16_e32 v31, v117, v54
	v_fmac_f16_e32 v30, v26, v57
	v_mul_f16_e32 v48, v117, v56
	v_fma_f16 v21, v26, v55, -v21
	v_add_f16_e32 v26, v63, v89
	v_fmac_f16_e32 v31, v27, v56
	v_add_f16_e32 v50, v4, v63
	v_fma_f16 v27, v27, v54, -v48
	v_add_f16_e32 v48, v22, v1
	v_fma_f16 v4, -0.5, v26, v4
	v_sub_f16_e32 v26, v22, v1
	v_add_f16_e32 v22, v46, v22
	v_lshrrev_b32_e32 v49, 16, v5
	v_fmac_f16_e32 v46, -0.5, v48
	v_sub_f16_e32 v48, v63, v89
	v_fmamk_f16 v51, v26, 0xbaee, v4
	v_add_f16_e32 v1, v22, v1
	v_add_f16_e32 v22, v47, v23
	v_fmac_f16_e32 v4, 0x3aee, v26
	v_fmamk_f16 v53, v48, 0x3aee, v46
	v_add_f16_e32 v26, v5, v47
	v_fmac_f16_e32 v46, 0xbaee, v48
	v_add_f16_e32 v48, v12, v10
	v_fmac_f16_e32 v5, -0.5, v22
	v_sub_f16_e32 v22, v12, v10
	v_add_f16_e32 v12, v49, v12
	v_add_f16_e32 v54, v26, v23
	v_fmac_f16_e32 v49, -0.5, v48
	v_sub_f16_e32 v23, v47, v23
	v_lshrrev_b32_e32 v52, 16, v2
	v_add_f16_e32 v10, v12, v10
	v_add_f16_e32 v12, v28, v29
	v_fmamk_f16 v47, v22, 0xbaee, v5
	v_fmac_f16_e32 v5, 0x3aee, v22
	v_fmamk_f16 v48, v23, 0x3aee, v49
	v_add_f16_e32 v22, v2, v28
	v_fmac_f16_e32 v49, 0xbaee, v23
	v_add_f16_e32 v23, v13, v11
	v_fma_f16 v2, -0.5, v12, v2
	v_sub_f16_e32 v12, v13, v11
	v_lshrrev_b32_e32 v59, 16, v3
	v_add_f16_e32 v55, v22, v29
	v_add_f16_e32 v13, v52, v13
	v_fmac_f16_e32 v52, -0.5, v23
	v_sub_f16_e32 v22, v28, v29
	v_fmamk_f16 v28, v12, 0xbaee, v2
	v_fmac_f16_e32 v2, 0x3aee, v12
	v_add_f16_e32 v12, v34, v35
	v_add_f16_e32 v11, v13, v11
	v_fmamk_f16 v13, v22, 0x3aee, v52
	v_add_f16_e32 v23, v3, v34
	v_fmac_f16_e32 v52, 0xbaee, v22
	v_add_f16_e32 v22, v8, v6
	v_fmac_f16_e32 v3, -0.5, v12
	v_sub_f16_e32 v12, v8, v6
	v_add_f16_e32 v8, v59, v8
	v_lshrrev_b32_e32 v62, 16, v0
	v_fmac_f16_e32 v59, -0.5, v22
	v_sub_f16_e32 v22, v34, v35
	v_add_f16_e32 v29, v23, v35
	v_add_f16_e32 v6, v8, v6
	;; [unrolled: 1-line block ×3, first 2 shown]
	v_fmamk_f16 v34, v12, 0xbaee, v3
	v_fmac_f16_e32 v3, 0x3aee, v12
	v_fmamk_f16 v12, v22, 0x3aee, v59
	v_add_f16_e32 v23, v0, v32
	v_fmac_f16_e32 v59, 0xbaee, v22
	v_add_f16_e32 v22, v9, v7
	v_fmac_f16_e32 v0, -0.5, v8
	v_sub_f16_e32 v8, v9, v7
	v_add_f16_e32 v9, v62, v9
	v_add_f16_e32 v50, v50, v89
	v_fmac_f16_e32 v62, -0.5, v22
	v_sub_f16_e32 v22, v32, v33
	v_fmamk_f16 v32, v8, 0xbaee, v0
	v_fmac_f16_e32 v0, 0x3aee, v8
	v_add_f16_e32 v8, v30, v31
	v_add_f16_e32 v35, v23, v33
	;; [unrolled: 1-line block ×3, first 2 shown]
	v_fmamk_f16 v9, v22, 0x3aee, v62
	v_fmac_f16_e32 v62, 0xbaee, v22
	v_add_f16_e32 v22, v21, v27
	v_add_f16_e32 v23, v30, v14
	v_fmac_f16_e32 v14, -0.5, v8
	v_sub_f16_e32 v8, v21, v27
	v_add_f16_e32 v26, v21, v20
	v_fmac_f16_e32 v20, -0.5, v22
	v_sub_f16_e32 v30, v30, v31
	v_add_f16_e32 v21, v23, v31
	v_fmamk_f16 v23, v8, 0xbaee, v14
	v_fmac_f16_e32 v14, 0x3aee, v8
	v_pack_b32_f16 v1, v50, v1
	v_pack_b32_f16 v8, v51, v53
	;; [unrolled: 1-line block ×3, first 2 shown]
	v_add_f16_e32 v22, v27, v26
	v_pack_b32_f16 v10, v54, v10
	v_pack_b32_f16 v27, v47, v48
	;; [unrolled: 1-line block ×5, first 2 shown]
	v_add_nc_u32_e32 v28, 0x700, v64
	v_fmamk_f16 v26, v30, 0x3aee, v20
	v_fmac_f16_e32 v20, 0xbaee, v30
	global_wb scope:SCOPE_SE
	s_barrier_signal -1
	s_barrier_wait -1
	global_inv scope:SCOPE_SE
	ds_store_2addr_b32 v64, v1, v8 offset1:160
	ds_store_b32 v64, v4 offset:1280
	ds_store_2addr_b32 v96, v10, v27 offset1:160
	ds_store_b32 v96, v5 offset:1280
	ds_store_2addr_b32 v28, v11, v13 offset0:52 offset1:212
	v_pack_b32_f16 v1, v2, v52
	v_pack_b32_f16 v2, v29, v6
	;; [unrolled: 1-line block ×6, first 2 shown]
	v_add_nc_u32_e32 v7, 0xe00, v18
	v_pack_b32_f16 v0, v0, v62
	ds_store_b32 v64, v1 offset:3280
	ds_store_2addr_b32 v94, v2, v4 offset1:160
	ds_store_b32 v94, v3 offset:1280
	ds_store_2addr_b32 v7, v5, v6 offset0:64 offset1:224
	ds_store_b32 v18, v0 offset:5120
	s_and_saveexec_b32 s1, s0
	s_cbranch_execz .LBB0_25
; %bb.24:
	v_lshlrev_b32_e32 v0, 2, v91
	v_perm_b32 v1, v22, v21, 0x5040100
	v_perm_b32 v2, v26, v23, 0x5040100
	;; [unrolled: 1-line block ×3, first 2 shown]
	s_delay_alu instid0(VALU_DEP_4)
	v_add_nc_u32_e32 v3, 0xe00, v0
	ds_store_2addr_b32 v3, v1, v2 offset0:64 offset1:224
	ds_store_b32 v0, v4 offset:5120
.LBB0_25:
	s_wait_alu 0xfffe
	s_or_b32 exec_lo, exec_lo, s1
	v_add_nc_u32_e32 v2, 0xe00, v64
	v_add_nc_u32_e32 v0, 0x400, v64
	;; [unrolled: 1-line block ×6, first 2 shown]
	global_wb scope:SCOPE_SE
	s_wait_dscnt 0x0
	s_barrier_signal -1
	s_barrier_wait -1
	global_inv scope:SCOPE_SE
	ds_load_2addr_b32 v[4:5], v64 offset1:90
	ds_load_2addr_b32 v[0:1], v0 offset0:104 offset1:224
	ds_load_2addr_b32 v[12:13], v2 offset0:64 offset1:154
	;; [unrolled: 1-line block ×6, first 2 shown]
	ds_load_b32 v30, v64 offset:5280
	s_and_saveexec_b32 s1, s0
	s_cbranch_execz .LBB0_27
; %bb.26:
	ds_load_b32 v21, v64 offset:1800
	ds_load_b32 v23, v64 offset:3720
	;; [unrolled: 1-line block ×3, first 2 shown]
	s_wait_dscnt 0x2
	v_lshrrev_b32_e32 v22, 16, v21
	s_wait_dscnt 0x1
	v_lshrrev_b32_e32 v26, 16, v23
	;; [unrolled: 2-line block ×3, first 2 shown]
.LBB0_27:
	s_wait_alu 0xfffe
	s_or_b32 exec_lo, exec_lo, s1
	s_wait_dscnt 0x6
	v_lshrrev_b32_e32 v32, 16, v1
	s_wait_dscnt 0x5
	v_lshrrev_b32_e32 v33, 16, v12
	;; [unrolled: 2-line block ×3, first 2 shown]
	v_mul_f16_e32 v56, v123, v1
	v_lshrrev_b32_e32 v46, 16, v13
	v_mul_f16_e32 v54, v123, v32
	v_mul_f16_e32 v58, v120, v33
	v_lshrrev_b32_e32 v48, 16, v11
	v_fma_f16 v32, v36, v32, -v56
	s_wait_dscnt 0x2
	v_lshrrev_b32_e32 v49, 16, v8
	v_fmac_f16_e32 v54, v36, v1
	v_mul_f16_e32 v1, v120, v12
	v_mul_f16_e32 v36, v121, v35
	v_fmac_f16_e32 v58, v37, v12
	v_mul_f16_e32 v12, v121, v10
	s_wait_dscnt 0x1
	v_lshrrev_b32_e32 v51, 16, v6
	v_fma_f16 v1, v37, v33, -v1
	v_mul_f16_e32 v33, v118, v46
	v_lshrrev_b32_e32 v52, 16, v9
	v_fmac_f16_e32 v36, v38, v10
	v_mul_f16_e32 v10, v118, v13
	v_lshrrev_b32_e32 v55, 16, v7
	v_fma_f16 v12, v38, v35, -v12
	v_mul_f16_e32 v35, v115, v48
	v_fmac_f16_e32 v33, v39, v13
	v_mul_f16_e32 v13, v115, v11
	v_fma_f16 v10, v39, v46, -v10
	v_mul_f16_e32 v37, v113, v49
	v_mul_f16_e32 v38, v116, v51
	;; [unrolled: 1-line block ×3, first 2 shown]
	s_wait_dscnt 0x0
	v_lshrrev_b32_e32 v57, 16, v30
	v_fmac_f16_e32 v35, v42, v11
	v_mul_f16_e32 v11, v113, v8
	v_fma_f16 v13, v42, v48, -v13
	v_mul_f16_e32 v42, v112, v55
	v_fmac_f16_e32 v37, v43, v8
	v_mul_f16_e32 v8, v116, v6
	v_fmac_f16_e32 v38, v44, v6
	;; [unrolled: 2-line block ×3, first 2 shown]
	v_mul_f16_e32 v9, v112, v7
	v_fma_f16 v11, v43, v49, -v11
	v_mul_f16_e32 v43, v111, v57
	v_fmac_f16_e32 v42, v40, v7
	v_mul_f16_e32 v7, v111, v30
	v_lshrrev_b32_e32 v31, 16, v4
	v_fma_f16 v9, v40, v55, -v9
	v_add_f16_e32 v40, v54, v58
	v_fmac_f16_e32 v43, v41, v30
	v_fma_f16 v7, v41, v57, -v7
	v_add_f16_e32 v41, v32, v1
	v_add_f16_e32 v30, v4, v54
	v_fma_f16 v4, -0.5, v40, v4
	v_sub_f16_e32 v40, v32, v1
	v_add_f16_e32 v32, v31, v32
	v_fmac_f16_e32 v31, -0.5, v41
	v_sub_f16_e32 v41, v54, v58
	v_lshrrev_b32_e32 v34, 16, v5
	v_fma_f16 v8, v44, v51, -v8
	v_add_f16_e32 v1, v32, v1
	v_add_f16_e32 v32, v36, v33
	v_fma_f16 v6, v45, v52, -v6
	v_fmamk_f16 v44, v40, 0xbaee, v4
	v_fmac_f16_e32 v4, 0x3aee, v40
	v_fmamk_f16 v40, v41, 0x3aee, v31
	v_add_f16_e32 v45, v5, v36
	v_fmac_f16_e32 v31, 0xbaee, v41
	v_add_f16_e32 v41, v12, v10
	v_fmac_f16_e32 v5, -0.5, v32
	v_sub_f16_e32 v32, v12, v10
	v_add_f16_e32 v12, v34, v12
	v_add_f16_e32 v45, v45, v33
	v_fmac_f16_e32 v34, -0.5, v41
	v_sub_f16_e32 v33, v36, v33
	v_lshrrev_b32_e32 v47, 16, v2
	v_add_f16_e32 v10, v12, v10
	v_add_f16_e32 v12, v35, v37
	v_fmamk_f16 v36, v32, 0xbaee, v5
	v_fmac_f16_e32 v5, 0x3aee, v32
	v_fmamk_f16 v32, v33, 0x3aee, v34
	v_fmac_f16_e32 v34, 0xbaee, v33
	v_add_f16_e32 v33, v13, v11
	v_add_f16_e32 v41, v2, v35
	v_fma_f16 v2, -0.5, v12, v2
	v_sub_f16_e32 v12, v13, v11
	v_add_f16_e32 v13, v47, v13
	v_fmac_f16_e32 v47, -0.5, v33
	v_sub_f16_e32 v33, v35, v37
	v_lshrrev_b32_e32 v50, 16, v3
	v_fmamk_f16 v35, v12, 0xbaee, v2
	v_fmac_f16_e32 v2, 0x3aee, v12
	v_add_f16_e32 v12, v38, v39
	v_add_f16_e32 v11, v13, v11
	v_fmamk_f16 v13, v33, 0x3aee, v47
	v_fmac_f16_e32 v47, 0xbaee, v33
	v_add_f16_e32 v33, v8, v6
	v_add_f16_e32 v41, v41, v37
	;; [unrolled: 1-line block ×3, first 2 shown]
	v_fmac_f16_e32 v3, -0.5, v12
	v_sub_f16_e32 v12, v8, v6
	v_add_f16_e32 v8, v50, v8
	v_fmac_f16_e32 v50, -0.5, v33
	v_sub_f16_e32 v33, v38, v39
	v_lshrrev_b32_e32 v53, 16, v0
	v_fmamk_f16 v38, v12, 0xbaee, v3
	v_add_f16_e32 v6, v8, v6
	v_add_f16_e32 v8, v42, v43
	v_fmac_f16_e32 v3, 0x3aee, v12
	v_fmamk_f16 v12, v33, 0x3aee, v50
	v_fmac_f16_e32 v50, 0xbaee, v33
	v_add_f16_e32 v33, v9, v7
	v_add_f16_e32 v37, v37, v39
	;; [unrolled: 1-line block ×3, first 2 shown]
	v_fmac_f16_e32 v0, -0.5, v8
	v_sub_f16_e32 v8, v9, v7
	v_add_f16_e32 v9, v53, v9
	v_add_f16_e32 v30, v30, v58
	v_fmac_f16_e32 v53, -0.5, v33
	v_sub_f16_e32 v33, v42, v43
	v_pack_b32_f16 v4, v4, v31
	v_add_f16_e32 v7, v9, v7
	v_pack_b32_f16 v9, v44, v40
	v_fmamk_f16 v42, v8, 0xbaee, v0
	v_fmac_f16_e32 v0, 0x3aee, v8
	v_fmamk_f16 v8, v33, 0x3aee, v53
	v_pack_b32_f16 v1, v30, v1
	v_pack_b32_f16 v10, v45, v10
	v_add_f16_e32 v39, v39, v43
	v_pack_b32_f16 v5, v5, v34
	v_fmac_f16_e32 v53, 0xbaee, v33
	v_pack_b32_f16 v30, v36, v32
	v_pack_b32_f16 v13, v35, v13
	ds_store_b32 v64, v9 offset:1920
	ds_store_b32 v64, v4 offset:3840
	ds_store_2addr_b32 v64, v1, v10 offset1:90
	ds_store_b32 v64, v5 offset:4200
	v_pack_b32_f16 v1, v41, v11
	v_pack_b32_f16 v4, v37, v6
	;; [unrolled: 1-line block ×8, first 2 shown]
	ds_store_2addr_b32 v29, v30, v13 offset0:58 offset1:148
	ds_store_2addr_b32 v18, v1, v4 offset0:52 offset1:142
	;; [unrolled: 1-line block ×4, first 2 shown]
	ds_store_b32 v64, v7 offset:1440
	ds_store_b32 v64, v0 offset:5280
	s_and_saveexec_b32 s1, s0
	s_cbranch_execz .LBB0_29
; %bb.28:
	v_mul_f16_e32 v0, v109, v14
	v_mul_f16_e32 v1, v110, v23
	v_mul_f16_e32 v2, v110, v26
	v_mul_f16_e32 v3, v109, v20
	s_delay_alu instid0(VALU_DEP_4) | instskip(NEXT) | instid1(VALU_DEP_4)
	v_fma_f16 v0, v25, v20, -v0
	v_fma_f16 v1, v24, v26, -v1
	s_delay_alu instid0(VALU_DEP_4) | instskip(NEXT) | instid1(VALU_DEP_4)
	v_fmac_f16_e32 v2, v24, v23
	v_fmac_f16_e32 v3, v25, v14
	s_delay_alu instid0(VALU_DEP_3) | instskip(SKIP_1) | instid1(VALU_DEP_3)
	v_add_f16_e32 v4, v1, v0
	v_add_f16_e32 v5, v1, v22
	;; [unrolled: 1-line block ×4, first 2 shown]
	v_sub_f16_e32 v2, v2, v3
	v_fmac_f16_e32 v22, -0.5, v4
	v_sub_f16_e32 v1, v1, v0
	v_fmac_f16_e32 v21, -0.5, v6
	v_add_f16_e32 v0, v0, v5
	v_add_f16_e32 v3, v7, v3
	v_fmamk_f16 v4, v2, 0xbaee, v22
	v_fmac_f16_e32 v22, 0x3aee, v2
	v_fmamk_f16 v2, v1, 0x3aee, v21
	v_fmac_f16_e32 v21, 0xbaee, v1
	v_pack_b32_f16 v0, v3, v0
	s_delay_alu instid0(VALU_DEP_3) | instskip(NEXT) | instid1(VALU_DEP_3)
	v_pack_b32_f16 v2, v2, v4
	v_pack_b32_f16 v1, v21, v22
	ds_store_b32 v64, v0 offset:1800
	ds_store_b32 v64, v1 offset:3720
	;; [unrolled: 1-line block ×3, first 2 shown]
.LBB0_29:
	s_wait_alu 0xfffe
	s_or_b32 exec_lo, exec_lo, s1
	global_wb scope:SCOPE_SE
	s_wait_dscnt 0x0
	s_barrier_signal -1
	s_barrier_wait -1
	global_inv scope:SCOPE_SE
	ds_load_2addr_b32 v[0:1], v64 offset1:144
	v_mad_co_u64_u32 v[12:13], null, s10, v19, 0
	s_mov_b32 s12, 0x16c16c17
	s_mov_b32 s13, 0x3f46c16c
	v_mad_co_u64_u32 v[24:25], null, s8, v17, 0
	v_add_nc_u32_e32 v4, 0x400, v64
	s_wait_dscnt 0x0
	v_lshrrev_b32_e32 v2, 16, v0
	v_mul_f16_e32 v3, v85, v0
	v_lshrrev_b32_e32 v6, 16, v1
	v_mul_f16_e32 v7, v84, v1
	s_delay_alu instid0(VALU_DEP_4) | instskip(NEXT) | instid1(VALU_DEP_4)
	v_mul_f16_e32 v8, v85, v2
	v_fma_f16 v3, v82, v2, -v3
	s_delay_alu instid0(VALU_DEP_4) | instskip(NEXT) | instid1(VALU_DEP_4)
	v_mul_f16_e32 v9, v84, v6
	v_fma_f16 v2, v81, v6, -v7
	s_delay_alu instid0(VALU_DEP_4) | instskip(NEXT) | instid1(VALU_DEP_4)
	v_fmac_f16_e32 v8, v82, v0
	v_cvt_f32_f16_e32 v3, v3
	s_delay_alu instid0(VALU_DEP_4) | instskip(NEXT) | instid1(VALU_DEP_4)
	v_fmac_f16_e32 v9, v81, v1
	v_cvt_f32_f16_e32 v0, v2
	s_delay_alu instid0(VALU_DEP_4) | instskip(NEXT) | instid1(VALU_DEP_4)
	v_cvt_f32_f16_e32 v8, v8
	v_cvt_f64_f32_e32 v[2:3], v3
	s_delay_alu instid0(VALU_DEP_3) | instskip(NEXT) | instid1(VALU_DEP_3)
	v_cvt_f64_f32_e32 v[6:7], v0
	v_cvt_f64_f32_e32 v[0:1], v8
	v_cvt_f32_f16_e32 v8, v9
	s_delay_alu instid0(VALU_DEP_1)
	v_cvt_f64_f32_e32 v[8:9], v8
	s_wait_alu 0xfffe
	v_mul_f64_e32 v[22:23], s[12:13], v[2:3]
	v_mov_b32_e32 v2, v13
	v_mul_f64_e32 v[6:7], s[12:13], v[6:7]
	v_mul_f64_e32 v[0:1], s[12:13], v[0:1]
	s_delay_alu instid0(VALU_DEP_3)
	v_mad_co_u64_u32 v[2:3], null, s11, v19, v[2:3]
	v_mov_b32_e32 v3, v25
	ds_load_2addr_b32 v[4:5], v4 offset0:32 offset1:176
	v_mul_f64_e32 v[8:9], s[12:13], v[8:9]
	v_mov_b32_e32 v13, v2
	s_wait_dscnt 0x0
	v_lshrrev_b32_e32 v10, 16, v4
	v_lshrrev_b32_e32 v14, 16, v5
	s_delay_alu instid0(VALU_DEP_2) | instskip(NEXT) | instid1(VALU_DEP_2)
	v_mul_f16_e32 v11, v83, v10
	v_mul_f16_e32 v18, v79, v14
	v_lshrrev_b32_e32 v19, 8, v23
	s_delay_alu instid0(VALU_DEP_3) | instskip(SKIP_1) | instid1(VALU_DEP_4)
	v_fmac_f16_e32 v11, v80, v4
	v_mul_f16_e32 v4, v83, v4
	v_fmac_f16_e32 v18, v78, v5
	v_and_or_b32 v6, 0x1ff, v7, v6
	v_and_or_b32 v0, 0x1ff, v1, v0
	v_cvt_f32_f16_e32 v11, v11
	v_fma_f16 v4, v80, v10, -v4
	v_cvt_f32_f16_e32 v2, v18
	v_bfe_u32 v27, v1, 20, 11
	v_and_or_b32 v8, 0x1ff, v9, v8
	v_cvt_f64_f32_e32 v[10:11], v11
	v_cvt_f32_f16_e32 v4, v4
	v_lshrrev_b32_e32 v26, 8, v1
	v_sub_nc_u32_e32 v32, 0x3f1, v27
	v_lshrrev_b32_e32 v29, 8, v9
	v_bfe_u32 v30, v9, 20, 11
	v_cvt_f64_f32_e32 v[20:21], v4
	v_mad_co_u64_u32 v[3:4], null, s9, v17, v[3:4]
	v_add_nc_u32_e32 v27, 0xfffffc10, v27
	v_lshrrev_b32_e32 v1, 16, v1
	v_mul_f16_e32 v5, v79, v5
	s_delay_alu instid0(VALU_DEP_4) | instskip(NEXT) | instid1(VALU_DEP_2)
	v_mov_b32_e32 v25, v3
	v_fma_f16 v5, v78, v14, -v5
	v_mul_f64_e32 v[10:11], s[12:13], v[10:11]
	v_mul_f64_e32 v[17:18], s[12:13], v[20:21]
	v_bfe_u32 v20, v23, 20, 11
	v_lshrrev_b32_e32 v21, 16, v23
	s_delay_alu instid0(VALU_DEP_2) | instskip(SKIP_2) | instid1(VALU_DEP_1)
	v_sub_nc_u32_e32 v28, 0x3f1, v20
	v_add_nc_u32_e32 v20, 0xfffffc10, v20
	v_lshlrev_b64_e32 v[12:13], 2, v[12:13]
	v_add_co_u32 v3, s0, s6, v12
	s_wait_alu 0xf1ff
	s_delay_alu instid0(VALU_DEP_2)
	v_add_co_ci_u32_e64 v4, s0, s7, v13, s0
	v_cvt_f64_f32_e32 v[12:13], v2
	v_and_or_b32 v2, 0x1ff, v23, v22
	v_lshrrev_b32_e32 v22, 8, v7
	v_bfe_u32 v23, v7, 20, 11
	v_lshrrev_b32_e32 v7, 16, v7
	s_delay_alu instid0(VALU_DEP_4) | instskip(NEXT) | instid1(VALU_DEP_3)
	v_cmp_ne_u32_e64 s0, 0, v2
	v_sub_nc_u32_e32 v31, 0x3f1, v23
	v_add_nc_u32_e32 v23, 0xfffffc10, v23
	s_wait_alu 0xf1ff
	s_delay_alu instid0(VALU_DEP_3) | instskip(SKIP_3) | instid1(VALU_DEP_4)
	v_cndmask_b32_e64 v2, 0, 1, s0
	v_cmp_ne_u32_e64 s0, 0, v6
	v_and_or_b32 v10, 0x1ff, v11, v10
	v_bfe_u32 v33, v11, 20, 11
	v_and_or_b32 v2, 0xffe, v19, v2
	s_wait_alu 0xf1ff
	v_cndmask_b32_e64 v6, 0, 1, s0
	v_cmp_ne_u32_e64 s0, 0, v0
	v_med3_i32 v19, v28, 0, 13
	v_sub_nc_u32_e32 v28, 0x3f1, v30
	v_lshl_or_b32 v34, v20, 12, v2
	v_and_or_b32 v6, 0xffe, v22, v6
	s_wait_alu 0xf1ff
	v_cndmask_b32_e64 v0, 0, 1, s0
	v_cmp_ne_u32_e64 s0, 0, v8
	v_med3_i32 v22, v31, 0, 13
	v_add_nc_u32_e32 v30, 0xfffffc10, v30
	v_lshrrev_b32_e32 v31, 8, v11
	v_and_or_b32 v0, 0xffe, v26, v0
	s_wait_alu 0xf1ff
	v_cndmask_b32_e64 v8, 0, 1, s0
	v_cmp_ne_u32_e64 s0, 0, v2
	v_med3_i32 v26, v32, 0, 13
	v_or_b32_e32 v32, 0x1000, v2
	v_sub_nc_u32_e32 v36, 0x3f1, v33
	v_and_or_b32 v8, 0xffe, v29, v8
	s_wait_alu 0xf1ff
	v_cndmask_b32_e64 v2, 0, 1, s0
	v_cmp_ne_u32_e64 s0, 0, v10
	v_or_b32_e32 v29, 0x1000, v6
	v_lshrrev_b32_e32 v39, v19, v32
	v_or_b32_e32 v37, 0x1000, v0
	v_lshl_or_b32 v38, v27, 12, v0
	s_wait_alu 0xf1ff
	v_cndmask_b32_e64 v10, 0, 1, s0
	v_cmp_ne_u32_e64 s0, 0, v0
	v_lshrrev_b32_e32 v42, v22, v29
	v_lshlrev_b32_e32 v19, v19, v39
	v_med3_i32 v28, v28, 0, 13
	v_or_b32_e32 v40, 0x1000, v8
	s_wait_alu 0xf1ff
	v_cndmask_b32_e64 v0, 0, 1, s0
	v_cmp_ne_u32_e64 s0, 0, v8
	v_lshl_or_b32 v41, v30, 12, v8
	v_and_or_b32 v31, 0xffe, v31, v10
	v_med3_i32 v10, v36, 0, 13
	v_lshrrev_b32_e32 v36, v26, v37
	s_wait_alu 0xf1ff
	v_cndmask_b32_e64 v8, 0, 1, s0
	v_lshlrev_b32_e32 v22, v22, v42
	v_cmp_ne_u32_e64 s0, v19, v32
	v_lshrrev_b32_e32 v43, v28, v40
	v_lshlrev_b32_e32 v26, v26, v36
	v_lshl_or_b32 v35, v23, 12, v6
	v_lshl_or_b32 v0, v0, 9, 0x7c00
	s_wait_alu 0xf1ff
	v_cndmask_b32_e64 v19, 0, 1, s0
	v_cmp_ne_u32_e64 s0, v22, v29
	v_lshlrev_b32_e32 v28, v28, v43
	v_lshl_or_b32 v2, v2, 9, 0x7c00
	v_or_b32_e32 v44, 0x1000, v31
	v_or_b32_e32 v19, v39, v19
	s_wait_alu 0xf1ff
	v_cndmask_b32_e64 v22, 0, 1, s0
	v_cmp_ne_u32_e64 s0, v26, v37
	v_bfe_u32 v14, v18, 20, 11
	v_lshrrev_b32_e32 v11, 16, v11
	s_delay_alu instid0(VALU_DEP_4) | instskip(SKIP_3) | instid1(VALU_DEP_2)
	v_or_b32_e32 v22, v42, v22
	s_wait_alu 0xf1ff
	v_cndmask_b32_e64 v26, 0, 1, s0
	v_cmp_ne_u32_e64 s0, v28, v40
	v_or_b32_e32 v26, v36, v26
	s_wait_alu 0xf1ff
	s_delay_alu instid0(VALU_DEP_2) | instskip(SKIP_1) | instid1(VALU_DEP_2)
	v_cndmask_b32_e64 v28, 0, 1, s0
	v_cmp_gt_i32_e64 s0, 1, v20
	v_or_b32_e32 v28, v43, v28
	s_wait_alu 0xf1ff
	s_delay_alu instid0(VALU_DEP_2) | instskip(SKIP_1) | instid1(VALU_DEP_2)
	v_cndmask_b32_e64 v19, v34, v19, s0
	v_cmp_gt_i32_e64 s0, 1, v23
	v_and_b32_e32 v29, 7, v19
	s_wait_alu 0xf1ff
	s_delay_alu instid0(VALU_DEP_2) | instskip(SKIP_3) | instid1(VALU_DEP_4)
	v_cndmask_b32_e64 v22, v35, v22, s0
	v_cmp_gt_i32_e64 s0, 1, v27
	v_lshrrev_b32_e32 v19, 2, v19
	v_cmp_eq_u32_e64 s3, 3, v29
	v_and_b32_e32 v34, 7, v22
	s_wait_alu 0xf1ff
	v_cndmask_b32_e64 v26, v38, v26, s0
	v_cmp_gt_i32_e64 s0, 1, v30
	v_lshrrev_b32_e32 v22, 2, v22
	v_cmp_lt_i32_e64 s4, 5, v34
	s_delay_alu instid0(VALU_DEP_4)
	v_and_b32_e32 v32, 7, v26
	s_wait_alu 0xf1ff
	v_cndmask_b32_e64 v28, v41, v28, s0
	v_cmp_lt_i32_e64 s0, 5, v29
	v_lshrrev_b32_e32 v26, 2, v26
	v_cmp_lt_i32_e64 s1, 5, v32
	v_cmp_eq_u32_e64 s2, 3, v32
	s_delay_alu instid0(VALU_DEP_4)
	s_or_b32 s0, s3, s0
	v_and_b32_e32 v29, 7, v28
	s_wait_alu 0xfffe
	v_add_co_ci_u32_e64 v19, s0, 0, v19, s0
	s_or_b32 s1, s2, s1
	v_cmp_gt_i32_e64 s0, 31, v27
	s_wait_alu 0xfffe
	v_add_co_ci_u32_e64 v26, s1, 0, v26, s1
	v_cmp_gt_i32_e64 s1, 31, v20
	v_lshrrev_b32_e32 v28, 2, v28
	v_cmp_eq_u32_e64 s2, 3, v34
	s_wait_alu 0xf1ff
	v_cndmask_b32_e64 v26, 0x7c00, v26, s0
	v_cmp_lt_i32_e64 s0, 5, v29
	v_cndmask_b32_e64 v19, 0x7c00, v19, s1
	v_cmp_eq_u32_e64 s1, 0x40f, v27
	v_cmp_eq_u32_e64 s3, 0x40f, v20
	s_wait_alu 0xf1ff
	s_delay_alu instid0(VALU_DEP_2) | instskip(SKIP_1) | instid1(VALU_DEP_3)
	v_cndmask_b32_e64 v0, v26, v0, s1
	v_cmp_eq_u32_e64 s1, 3, v29
	v_cndmask_b32_e64 v2, v19, v2, s3
	s_delay_alu instid0(VALU_DEP_3) | instskip(NEXT) | instid1(VALU_DEP_3)
	v_and_or_b32 v0, 0x8000, v1, v0
	s_or_b32 s0, s1, s0
	s_delay_alu instid0(VALU_DEP_2)
	v_and_or_b32 v2, 0x8000, v21, v2
	s_wait_alu 0xfffe
	v_add_co_ci_u32_e64 v1, s0, 0, v28, s0
	s_or_b32 s0, s2, s4
	v_and_b32_e32 v0, 0xffff, v0
	s_wait_alu 0xfffe
	v_add_co_ci_u32_e64 v19, s0, 0, v22, s0
	v_cmp_gt_i32_e64 s0, 31, v30
	v_add_nc_u32_e32 v21, 0xfffffc10, v33
	v_lshl_or_b32 v2, v2, 16, v0
	s_wait_alu 0xf1ff
	s_delay_alu instid0(VALU_DEP_3) | instskip(SKIP_3) | instid1(VALU_DEP_2)
	v_cndmask_b32_e64 v1, 0x7c00, v1, s0
	v_cmp_ne_u32_e64 s0, 0, v6
	v_lshl_or_b32 v6, v8, 9, 0x7c00
	s_wait_alu 0xf1ff
	v_cndmask_b32_e64 v0, 0, 1, s0
	v_cmp_gt_i32_e64 s0, 31, v23
	s_delay_alu instid0(VALU_DEP_2) | instskip(SKIP_1) | instid1(VALU_DEP_2)
	v_lshl_or_b32 v0, v0, 9, 0x7c00
	s_wait_alu 0xf1ff
	v_cndmask_b32_e64 v8, 0x7c00, v19, s0
	v_cmp_eq_u32_e64 s0, 0x40f, v30
	v_lshrrev_b32_e32 v19, v10, v44
	s_wait_alu 0xf1ff
	s_delay_alu instid0(VALU_DEP_2)
	v_cndmask_b32_e64 v1, v1, v6, s0
	v_cmp_eq_u32_e64 s0, 0x40f, v23
	v_lshrrev_b32_e32 v6, 16, v9
	v_lshlrev_b32_e32 v9, v10, v19
	v_lshl_or_b32 v10, v21, 12, v31
	s_wait_alu 0xf1ff
	v_cndmask_b32_e64 v8, v8, v0, s0
	v_and_or_b32 v6, 0x8000, v6, v1
	v_cmp_ne_u32_e64 s0, v9, v44
	v_lshlrev_b64_e32 v[0:1], 2, v[24:25]
	s_delay_alu instid0(VALU_DEP_4) | instskip(SKIP_4) | instid1(VALU_DEP_3)
	v_and_or_b32 v20, 0x8000, v7, v8
	v_and_or_b32 v7, 0x1ff, v18, v17
	s_wait_alu 0xf1ff
	v_cndmask_b32_e64 v9, 0, 1, s0
	v_and_b32_e32 v17, 0xffff, v6
	v_cmp_ne_u32_e64 s0, 0, v7
	s_delay_alu instid0(VALU_DEP_3)
	v_or_b32_e32 v8, v19, v9
	v_lshrrev_b32_e32 v7, 8, v18
	v_add_nc_u32_e32 v9, 0x800, v64
	v_sub_nc_u32_e32 v19, 0x3f1, v14
	s_wait_alu 0xf1ff
	v_cndmask_b32_e64 v6, 0, 1, s0
	v_cmp_gt_i32_e64 s0, 1, v21
	v_lshl_or_b32 v25, v20, 16, v17
	v_add_nc_u32_e32 v14, 0xfffffc10, v14
	v_lshrrev_b32_e32 v18, 16, v18
	v_and_or_b32 v22, 0xffe, v7, v6
	v_cvt_f32_f16_e32 v7, v5
	ds_load_2addr_b32 v[5:6], v9 offset0:64 offset1:208
	s_wait_alu 0xf1ff
	v_cndmask_b32_e64 v23, v10, v8, s0
	v_mul_f64_e32 v[9:10], s[12:13], v[12:13]
	v_or_b32_e32 v12, 0x1000, v22
	v_cvt_f64_f32_e32 v[7:8], v7
	v_med3_i32 v13, v19, 0, 13
	v_add_co_u32 v0, s0, v3, v0
	v_and_b32_e32 v24, 7, v23
	s_wait_alu 0xf1ff
	v_add_co_ci_u32_e64 v1, s0, v4, v1, s0
	v_lshrrev_b32_e32 v19, v13, v12
	s_mul_u64 s[0:1], s[8:9], 0x90
	v_lshrrev_b32_e32 v20, 2, v23
	s_wait_alu 0xfffe
	s_lshl_b64 s[4:5], s[0:1], 2
	v_cmp_lt_i32_e64 s0, 5, v24
	v_lshlrev_b32_e32 v13, v13, v19
	v_cmp_eq_u32_e64 s1, 3, v24
	s_wait_dscnt 0x0
	v_lshrrev_b32_e32 v17, 16, v5
	s_delay_alu instid0(VALU_DEP_3) | instskip(NEXT) | instid1(VALU_DEP_3)
	v_cmp_ne_u32_e64 s2, v13, v12
	s_or_b32 s0, s1, s0
	s_wait_alu 0xfffe
	v_add_co_ci_u32_e64 v20, s0, 0, v20, s0
	s_delay_alu instid0(VALU_DEP_2) | instskip(SKIP_2) | instid1(VALU_DEP_3)
	v_cndmask_b32_e64 v12, 0, 1, s2
	v_mul_f16_e32 v13, v77, v17
	v_cmp_ne_u32_e64 s0, 0, v31
	v_or_b32_e32 v12, v19, v12
	v_lshl_or_b32 v19, v14, 12, v22
	s_delay_alu instid0(VALU_DEP_4) | instskip(SKIP_4) | instid1(VALU_DEP_3)
	v_fmac_f16_e32 v13, v76, v5
	s_wait_alu 0xf1ff
	v_cndmask_b32_e64 v23, 0, 1, s0
	v_cmp_gt_i32_e64 s0, 1, v14
	v_mul_f16_e32 v5, v77, v5
	v_lshl_or_b32 v23, v23, 9, 0x7c00
	s_wait_alu 0xf1ff
	s_delay_alu instid0(VALU_DEP_3)
	v_cndmask_b32_e64 v24, v19, v12, s0
	v_cvt_f32_f16_e32 v12, v13
	v_cmp_gt_i32_e64 s0, 31, v21
	v_mul_f64_e32 v[7:8], s[12:13], v[7:8]
	v_and_or_b32 v9, 0x1ff, v10, v9
	v_and_b32_e32 v27, 7, v24
	v_cvt_f64_f32_e32 v[12:13], v12
	s_wait_alu 0xf1ff
	v_cndmask_b32_e64 v26, 0x7c00, v20, s0
	v_add_co_u32 v19, s0, v0, s4
	s_wait_alu 0xf1ff
	v_add_co_ci_u32_e64 v20, s0, s5, v1, s0
	v_cmp_eq_u32_e64 s0, 0x40f, v21
	v_cmp_ne_u32_e64 s1, 0, v9
	v_lshrrev_b32_e32 v24, 2, v24
	v_fma_f16 v5, v76, v17, -v5
	s_wait_alu 0xf1ff
	v_cndmask_b32_e64 v21, v26, v23, s0
	v_cmp_lt_i32_e64 s0, 5, v27
	v_cndmask_b32_e64 v9, 0, 1, s1
	v_cmp_eq_u32_e64 s1, 3, v27
	v_lshrrev_b32_e32 v23, 8, v10
	v_bfe_u32 v26, v10, 20, 11
	v_and_or_b32 v17, 0x8000, v11, v21
	v_cvt_f32_f16_e32 v5, v5
	s_or_b32 s0, s1, s0
	v_and_or_b32 v9, 0xffe, v23, v9
	s_wait_alu 0xfffe
	v_add_co_ci_u32_e64 v23, s0, 0, v24, s0
	v_sub_nc_u32_e32 v24, 0x3f1, v26
	v_cmp_ne_u32_e64 s0, 0, v22
	v_or_b32_e32 v27, 0x1000, v9
	v_and_b32_e32 v17, 0xffff, v17
	s_delay_alu instid0(VALU_DEP_4) | instskip(SKIP_3) | instid1(VALU_DEP_3)
	v_med3_i32 v24, v24, 0, 13
	s_wait_alu 0xf1ff
	v_cndmask_b32_e64 v22, 0, 1, s0
	v_cmp_gt_i32_e64 s0, 31, v14
	v_lshrrev_b32_e32 v21, v24, v27
	s_delay_alu instid0(VALU_DEP_3) | instskip(SKIP_1) | instid1(VALU_DEP_3)
	v_lshl_or_b32 v22, v22, 9, 0x7c00
	s_wait_alu 0xf1ff
	v_cndmask_b32_e64 v23, 0x7c00, v23, s0
	v_cmp_eq_u32_e64 s0, 0x40f, v14
	v_and_or_b32 v7, 0x1ff, v8, v7
	v_mul_f64_e32 v[11:12], s[12:13], v[12:13]
	v_cvt_f64_f32_e32 v[13:14], v5
	s_wait_alu 0xf1ff
	v_cndmask_b32_e64 v22, v23, v22, s0
	v_lshlrev_b32_e32 v23, v24, v21
	v_bfe_u32 v24, v8, 20, 11
	s_delay_alu instid0(VALU_DEP_3) | instskip(NEXT) | instid1(VALU_DEP_3)
	v_and_or_b32 v5, 0x8000, v18, v22
	v_cmp_ne_u32_e64 s0, v23, v27
	v_lshrrev_b32_e32 v23, 8, v8
	v_add_nc_u32_e32 v22, 0xfffffc10, v26
	s_delay_alu instid0(VALU_DEP_4) | instskip(SKIP_3) | instid1(VALU_DEP_2)
	v_lshl_or_b32 v5, v5, 16, v17
	s_wait_alu 0xf1ff
	v_cndmask_b32_e64 v18, 0, 1, s0
	v_cmp_ne_u32_e64 s0, 0, v7
	v_or_b32_e32 v18, v21, v18
	s_wait_alu 0xf1ff
	s_delay_alu instid0(VALU_DEP_2) | instskip(SKIP_2) | instid1(VALU_DEP_3)
	v_cndmask_b32_e64 v7, 0, 1, s0
	v_lshl_or_b32 v21, v22, 12, v9
	v_cmp_gt_i32_e64 s0, 1, v22
	v_and_or_b32 v7, 0xffe, v23, v7
	v_sub_nc_u32_e32 v23, 0x3f1, v24
	s_wait_alu 0xf1ff
	s_delay_alu instid0(VALU_DEP_3)
	v_cndmask_b32_e64 v21, v21, v18, s0
	v_add_co_u32 v17, s0, v19, s4
	v_or_b32_e32 v26, 0x1000, v7
	v_med3_i32 v23, v23, 0, 13
	s_wait_alu 0xf1ff
	v_add_co_ci_u32_e64 v18, s0, s5, v20, s0
	v_and_b32_e32 v28, 7, v21
	s_clause 0x2
	global_store_b32 v[0:1], v2, off
	global_store_b32 v[19:20], v25, off
	;; [unrolled: 1-line block ×3, first 2 shown]
	v_lshrrev_b32_e32 v27, v23, v26
	v_lshrrev_b32_e32 v5, 16, v6
	v_lshrrev_b32_e32 v2, 2, v21
	v_cmp_lt_i32_e64 s0, 5, v28
	v_cmp_eq_u32_e64 s1, 3, v28
	v_lshlrev_b32_e32 v0, v23, v27
	v_and_or_b32 v11, 0x1ff, v12, v11
	v_mul_f16_e32 v21, v75, v5
	v_add_nc_u32_e32 v20, 0xfffffc10, v24
	s_or_b32 s0, s1, s0
	v_cmp_ne_u32_e64 s2, v0, v26
	v_mul_f64_e32 v[0:1], s[12:13], v[13:14]
	s_wait_alu 0xfffe
	v_add_co_ci_u32_e64 v2, s0, 0, v2, s0
	v_cmp_ne_u32_e64 s0, 0, v11
	s_wait_alu 0xf1ff
	v_cndmask_b32_e64 v19, 0, 1, s2
	v_fmac_f16_e32 v21, v74, v6
	v_lshl_or_b32 v14, v20, 12, v7
	v_bfe_u32 v23, v12, 20, 11
	v_cndmask_b32_e64 v11, 0, 1, s0
	v_or_b32_e32 v13, v27, v19
	v_cmp_gt_i32_e64 s0, 1, v20
	v_cvt_f32_f16_e32 v19, v21
	v_lshrrev_b32_e32 v21, 8, v12
	v_cmp_eq_u32_e64 s2, 0x40f, v22
	v_mul_f16_e32 v6, v75, v6
	s_wait_alu 0xf1ff
	v_cndmask_b32_e64 v24, v14, v13, s0
	v_cmp_ne_u32_e64 s0, 0, v9
	v_cvt_f64_f32_e32 v[13:14], v19
	v_and_or_b32 v11, 0xffe, v21, v11
	v_sub_nc_u32_e32 v19, 0x3f1, v23
	v_and_b32_e32 v21, 7, v24
	s_wait_alu 0xf1ff
	v_cndmask_b32_e64 v9, 0, 1, s0
	v_cmp_gt_i32_e64 s0, 31, v22
	v_or_b32_e32 v25, 0x1000, v11
	v_med3_i32 v19, v19, 0, 13
	v_cmp_eq_u32_e64 s1, 3, v21
	v_lshl_or_b32 v9, v9, 9, 0x7c00
	s_wait_alu 0xf1ff
	v_cndmask_b32_e64 v2, 0x7c00, v2, s0
	v_cmp_lt_i32_e64 s0, 5, v21
	v_lshrrev_b32_e32 v21, v19, v25
	v_lshrrev_b32_e32 v22, 16, v10
	v_add_nc_u32_e32 v23, 0xfffffc10, v23
	v_cndmask_b32_e64 v2, v2, v9, s2
	v_lshrrev_b32_e32 v9, 2, v24
	v_lshlrev_b32_e32 v10, v19, v21
	s_or_b32 s0, s1, s0
	v_fma_f16 v5, v74, v5, -v6
	v_lshl_or_b32 v24, v23, 12, v11
	s_wait_alu 0xfffe
	v_add_co_ci_u32_e64 v19, s0, 0, v9, s0
	v_cmp_ne_u32_e64 s0, v10, v25
	v_and_or_b32 v0, 0x1ff, v1, v0
	v_cvt_f32_f16_e32 v5, v5
	v_lshrrev_b32_e32 v25, 8, v1
	v_bfe_u32 v26, v1, 20, 11
	s_wait_alu 0xf1ff
	v_cndmask_b32_e64 v9, 0, 1, s0
	v_cmp_ne_u32_e64 s0, 0, v7
	v_cvt_f64_f32_e32 v[5:6], v5
	v_and_or_b32 v2, 0x8000, v22, v2
	s_delay_alu instid0(VALU_DEP_4)
	v_or_b32_e32 v21, v21, v9
	s_wait_alu 0xf1ff
	v_cndmask_b32_e64 v7, 0, 1, s0
	v_cmp_ne_u32_e64 s0, 0, v0
	v_and_b32_e32 v2, 0xffff, v2
	v_mul_f64_e32 v[9:10], s[12:13], v[13:14]
	s_delay_alu instid0(VALU_DEP_4) | instskip(SKIP_3) | instid1(VALU_DEP_2)
	v_lshl_or_b32 v7, v7, 9, 0x7c00
	s_wait_alu 0xf1ff
	v_cndmask_b32_e64 v0, 0, 1, s0
	v_cmp_gt_i32_e64 s0, 1, v23
	v_and_or_b32 v0, 0xffe, v25, v0
	s_wait_alu 0xf1ff
	s_delay_alu instid0(VALU_DEP_2) | instskip(SKIP_3) | instid1(VALU_DEP_4)
	v_cndmask_b32_e64 v13, v24, v21, s0
	v_cmp_gt_i32_e64 s0, 31, v20
	v_add_nc_u32_e32 v25, 0xc00, v64
	v_or_b32_e32 v24, 0x1000, v0
	v_and_b32_e32 v21, 7, v13
	s_wait_alu 0xf1ff
	v_cndmask_b32_e64 v14, 0x7c00, v19, s0
	v_sub_nc_u32_e32 v19, 0x3f1, v26
	v_cmp_eq_u32_e64 s0, 0x40f, v20
	v_lshrrev_b32_e32 v20, 16, v8
	v_cmp_eq_u32_e64 s1, 3, v21
	v_lshrrev_b32_e32 v13, 2, v13
	v_med3_i32 v19, v19, 0, 13
	s_wait_alu 0xf1ff
	v_cndmask_b32_e64 v14, v14, v7, s0
	ds_load_2addr_b32 v[7:8], v25 offset0:96 offset1:240
	v_cmp_lt_i32_e64 s0, 5, v21
	v_lshrrev_b32_e32 v25, v19, v24
	v_and_or_b32 v20, 0x8000, v20, v14
	s_delay_alu instid0(VALU_DEP_3) | instskip(NEXT) | instid1(VALU_DEP_2)
	s_or_b32 s0, s1, s0
	v_lshlrev_b32_e32 v14, v19, v25
	s_wait_alu 0xfffe
	v_add_co_ci_u32_e64 v13, s0, 0, v13, s0
	v_add_nc_u32_e32 v19, 0xfffffc10, v26
	v_mul_f64_e32 v[5:6], s[12:13], v[5:6]
	v_cmp_ne_u32_e64 s0, v14, v24
	v_lshl_or_b32 v27, v20, 16, v2
	s_delay_alu instid0(VALU_DEP_4)
	v_lshl_or_b32 v22, v19, 12, v0
	v_and_or_b32 v9, 0x1ff, v10, v9
	s_wait_alu 0xf1ff
	v_cndmask_b32_e64 v14, 0, 1, s0
	v_cmp_gt_i32_e64 s0, 31, v23
	s_wait_dscnt 0x0
	v_lshrrev_b32_e32 v21, 16, v7
	s_delay_alu instid0(VALU_DEP_3)
	v_or_b32_e32 v14, v25, v14
	s_wait_alu 0xf1ff
	v_cndmask_b32_e64 v13, 0x7c00, v13, s0
	v_cmp_ne_u32_e64 s0, 0, v11
	v_mul_f16_e32 v24, v73, v21
	v_bfe_u32 v25, v10, 20, 11
	s_wait_alu 0xf1ff
	s_delay_alu instid0(VALU_DEP_3) | instskip(SKIP_3) | instid1(VALU_DEP_4)
	v_cndmask_b32_e64 v11, 0, 1, s0
	v_cmp_gt_i32_e64 s0, 1, v19
	v_fmac_f16_e32 v24, v72, v7
	v_mul_f16_e32 v7, v73, v7
	v_lshl_or_b32 v11, v11, 9, 0x7c00
	s_wait_alu 0xf1ff
	v_cndmask_b32_e64 v14, v22, v14, s0
	v_cmp_ne_u32_e64 s0, 0, v9
	v_lshrrev_b32_e32 v22, 8, v10
	v_fma_f16 v7, v72, v21, -v7
	s_wait_alu 0xf1ff
	s_delay_alu instid0(VALU_DEP_3) | instskip(SKIP_3) | instid1(VALU_DEP_4)
	v_cndmask_b32_e64 v9, 0, 1, s0
	v_cmp_eq_u32_e64 s0, 0x40f, v23
	v_and_b32_e32 v23, 7, v14
	v_cvt_f32_f16_e32 v7, v7
	v_and_or_b32 v9, 0xffe, v22, v9
	s_wait_alu 0xf1ff
	v_cndmask_b32_e64 v13, v13, v11, s0
	v_cvt_f32_f16_e32 v11, v24
	v_lshrrev_b32_e32 v24, 16, v12
	v_sub_nc_u32_e32 v22, 0x3f1, v25
	v_cmp_lt_i32_e64 s0, 5, v23
	v_cmp_eq_u32_e64 s1, 3, v23
	v_cvt_f64_f32_e32 v[11:12], v11
	v_and_or_b32 v23, 0x8000, v24, v13
	v_lshrrev_b32_e32 v13, 2, v14
	v_or_b32_e32 v26, 0x1000, v9
	v_med3_i32 v22, v22, 0, 13
	s_or_b32 s0, s1, s0
	v_and_or_b32 v5, 0x1ff, v6, v5
	s_wait_alu 0xfffe
	v_add_co_ci_u32_e64 v13, s0, 0, v13, s0
	v_lshrrev_b32_e32 v24, v22, v26
	v_cmp_ne_u32_e64 s0, 0, v0
	s_delay_alu instid0(VALU_DEP_2) | instskip(SKIP_1) | instid1(VALU_DEP_2)
	v_lshlrev_b32_e32 v21, v22, v24
	s_wait_alu 0xf1ff
	v_cndmask_b32_e64 v0, 0, 1, s0
	v_cmp_gt_i32_e64 s0, 31, v19
	s_delay_alu instid0(VALU_DEP_2) | instskip(SKIP_1) | instid1(VALU_DEP_2)
	v_lshl_or_b32 v0, v0, 9, 0x7c00
	s_wait_alu 0xf1ff
	v_cndmask_b32_e64 v22, 0x7c00, v13, s0
	v_cmp_ne_u32_e64 s0, v21, v26
	v_cvt_f64_f32_e32 v[13:14], v7
	v_add_nc_u32_e32 v21, 0xfffffc10, v25
	v_lshrrev_b32_e32 v25, 8, v6
	s_wait_alu 0xf1ff
	v_cndmask_b32_e64 v7, 0, 1, s0
	v_cmp_ne_u32_e64 s0, 0, v5
	s_wait_alu 0xf1ff
	s_delay_alu instid0(VALU_DEP_1) | instskip(SKIP_1) | instid1(VALU_DEP_2)
	v_cndmask_b32_e64 v5, 0, 1, s0
	v_cmp_eq_u32_e64 s0, 0x40f, v19
	v_and_or_b32 v5, 0xffe, v25, v5
	s_wait_alu 0xf1ff
	s_delay_alu instid0(VALU_DEP_2)
	v_cndmask_b32_e64 v19, v22, v0, s0
	v_bfe_u32 v22, v6, 20, 11
	v_or_b32_e32 v0, v24, v7
	v_lshl_or_b32 v7, v21, 12, v9
	v_cmp_gt_i32_e64 s0, 1, v21
	v_lshrrev_b32_e32 v24, 16, v1
	v_sub_nc_u32_e32 v25, 0x3f1, v22
	v_or_b32_e32 v26, 0x1000, v5
	v_add_nc_u32_e32 v22, 0xfffffc10, v22
	s_wait_alu 0xf1ff
	v_cndmask_b32_e64 v7, v7, v0, s0
	v_mul_f64_e32 v[0:1], s[12:13], v[11:12]
	v_med3_i32 v25, v25, 0, 13
	v_and_or_b32 v2, 0x8000, v24, v19
	v_and_b32_e32 v19, 0xffff, v23
	v_and_b32_e32 v20, 7, v7
	v_add_co_u32 v11, s0, v17, s4
	v_lshrrev_b32_e32 v23, v25, v26
	s_wait_alu 0xf1ff
	v_add_co_ci_u32_e64 v12, s0, s5, v18, s0
	v_cmp_lt_i32_e64 s0, 5, v20
	v_cmp_eq_u32_e64 s1, 3, v20
	v_lshlrev_b32_e32 v17, v25, v23
	v_lshl_or_b32 v24, v2, 16, v19
	v_lshrrev_b32_e32 v2, 16, v8
	v_lshrrev_b32_e32 v7, 2, v7
	s_or_b32 s0, s1, s0
	v_cmp_ne_u32_e64 s2, v17, v26
	v_mul_f64_e32 v[13:14], s[12:13], v[13:14]
	v_mul_f16_e32 v18, v71, v2
	s_wait_alu 0xfffe
	v_add_co_ci_u32_e64 v7, s0, 0, v7, s0
	s_wait_alu 0xf1ff
	v_cndmask_b32_e64 v17, 0, 1, s2
	v_cmp_ne_u32_e64 s0, 0, v9
	v_fmac_f16_e32 v18, v70, v8
	v_lshl_or_b32 v19, v22, 12, v5
	v_mul_f16_e32 v8, v71, v8
	v_or_b32_e32 v17, v23, v17
	s_wait_alu 0xf1ff
	v_cndmask_b32_e64 v9, 0, 1, s0
	v_cmp_gt_i32_e64 s0, 1, v22
	v_cvt_f32_f16_e32 v18, v18
	v_fma_f16 v2, v70, v2, -v8
	v_lshrrev_b32_e32 v6, 16, v6
	v_lshl_or_b32 v9, v9, 9, 0x7c00
	s_wait_alu 0xf1ff
	v_cndmask_b32_e64 v23, v19, v17, s0
	v_cmp_gt_i32_e64 s0, 31, v21
	v_cvt_f64_f32_e32 v[17:18], v18
	v_cvt_f32_f16_e32 v2, v2
	v_and_or_b32 v0, 0x1ff, v1, v0
	v_and_b32_e32 v25, 7, v23
	s_wait_alu 0xf1ff
	v_cndmask_b32_e64 v7, 0x7c00, v7, s0
	v_add_co_u32 v19, s0, v11, s4
	s_wait_alu 0xf1ff
	v_add_co_ci_u32_e64 v20, s0, s5, v12, s0
	v_cmp_eq_u32_e64 s0, 0x40f, v21
	v_cmp_ne_u32_e64 s1, 0, v0
	v_bfe_u32 v26, v1, 20, 11
	s_wait_alu 0xf1ff
	s_delay_alu instid0(VALU_DEP_3)
	v_cndmask_b32_e64 v21, v7, v9, s0
	v_cmp_lt_i32_e64 s0, 5, v25
	v_cndmask_b32_e64 v0, 0, 1, s1
	v_cmp_eq_u32_e64 s1, 3, v25
	v_lshrrev_b32_e32 v9, 2, v23
	v_lshrrev_b32_e32 v7, 8, v1
	v_lshrrev_b32_e32 v25, 16, v10
	v_lshrrev_b32_e32 v29, 8, v14
	s_or_b32 s0, s1, s0
	s_wait_alu 0xfffe
	v_add_co_ci_u32_e64 v9, s0, 0, v9, s0
	v_and_or_b32 v0, 0xffe, v7, v0
	v_sub_nc_u32_e32 v7, 0x3f1, v26
	v_cmp_ne_u32_e64 s0, 0, v5
	v_add_nc_u32_e32 v26, 0xfffffc10, v26
	v_and_or_b32 v21, 0x8000, v25, v21
	v_or_b32_e32 v23, 0x1000, v0
	v_med3_i32 v10, v7, 0, 13
	s_wait_alu 0xf1ff
	v_cndmask_b32_e64 v5, 0, 1, s0
	v_and_or_b32 v7, 0x1ff, v14, v13
	v_cmp_gt_i32_e64 s0, 31, v22
	v_lshrrev_b32_e32 v13, v10, v23
	s_delay_alu instid0(VALU_DEP_4) | instskip(SKIP_1) | instid1(VALU_DEP_3)
	v_lshl_or_b32 v5, v5, 9, 0x7c00
	s_wait_alu 0xf1ff
	v_cndmask_b32_e64 v9, 0x7c00, v9, s0
	v_cmp_ne_u32_e64 s0, 0, v7
	v_mul_f64_e32 v[7:8], s[12:13], v[17:18]
	v_lshlrev_b32_e32 v17, v10, v13
	s_wait_alu 0xf1ff
	s_delay_alu instid0(VALU_DEP_3) | instskip(SKIP_3) | instid1(VALU_DEP_4)
	v_cndmask_b32_e64 v28, 0, 1, s0
	v_cmp_eq_u32_e64 s0, 0x40f, v22
	v_bfe_u32 v22, v14, 20, 11
	v_lshrrev_b32_e32 v14, 16, v14
	v_and_or_b32 v28, 0xffe, v29, v28
	s_wait_alu 0xf1ff
	v_cndmask_b32_e64 v5, v9, v5, s0
	v_cvt_f64_f32_e32 v[9:10], v2
	v_sub_nc_u32_e32 v29, 0x3f1, v22
	v_add_nc_u32_e32 v2, 0x1200, v64
	v_cmp_ne_u32_e64 s0, v17, v23
	v_or_b32_e32 v30, 0x1000, v28
	v_and_or_b32 v5, 0x8000, v6, v5
	v_med3_i32 v29, v29, 0, 13
	ds_load_2addr_b32 v[17:18], v2 offset1:144
	s_wait_alu 0xf1ff
	v_cndmask_b32_e64 v23, 0, 1, s0
	v_and_b32_e32 v6, 0xffff, v21
	v_cmp_gt_i32_e64 s0, 1, v26
	v_lshrrev_b32_e32 v25, v29, v30
	s_clause 0x1
	global_store_b32 v[11:12], v27, off
	global_store_b32 v[19:20], v24, off
	v_or_b32_e32 v13, v13, v23
	v_lshl_or_b32 v23, v26, 12, v0
	v_add_nc_u32_e32 v11, 0xfffffc10, v22
	v_lshlrev_b32_e32 v21, v29, v25
	s_wait_alu 0xf1ff
	s_delay_alu instid0(VALU_DEP_3) | instskip(SKIP_1) | instid1(VALU_DEP_3)
	v_cndmask_b32_e64 v13, v23, v13, s0
	v_lshl_or_b32 v23, v5, 16, v6
	v_cmp_ne_u32_e64 s0, v21, v30
	v_cmp_gt_i32_e64 s2, 1, v11
	s_delay_alu instid0(VALU_DEP_4)
	v_and_b32_e32 v5, 7, v13
	v_lshrrev_b32_e32 v13, 2, v13
	s_wait_alu 0xf1ff
	v_cndmask_b32_e64 v6, 0, 1, s0
	s_wait_dscnt 0x0
	v_lshrrev_b32_e32 v12, 16, v17
	v_and_or_b32 v7, 0x1ff, v8, v7
	v_cmp_lt_i32_e64 s0, 5, v5
	v_cmp_eq_u32_e64 s1, 3, v5
	v_or_b32_e32 v5, v25, v6
	v_lshl_or_b32 v6, v11, 12, v28
	v_mul_f16_e32 v21, v69, v12
	v_lshrrev_b32_e32 v24, 8, v8
	s_or_b32 s0, s1, s0
	v_bfe_u32 v25, v8, 20, 11
	v_cndmask_b32_e64 v22, v6, v5, s2
	v_mul_f64_e32 v[5:6], s[12:13], v[9:10]
	v_fmac_f16_e32 v21, v68, v17
	v_cmp_ne_u32_e64 s2, 0, v7
	s_wait_alu 0xfffe
	v_add_co_ci_u32_e64 v13, s0, 0, v13, s0
	v_cmp_ne_u32_e64 s0, 0, v0
	v_cvt_f32_f16_e32 v9, v21
	v_and_b32_e32 v21, 7, v22
	s_wait_alu 0xf1ff
	v_cndmask_b32_e64 v7, 0, 1, s2
	v_lshrrev_b32_e32 v22, 2, v22
	v_cndmask_b32_e64 v0, 0, 1, s0
	v_cvt_f64_f32_e32 v[9:10], v9
	v_cmp_lt_i32_e64 s0, 5, v21
	v_cmp_eq_u32_e64 s1, 3, v21
	v_and_or_b32 v7, 0xffe, v24, v7
	v_sub_nc_u32_e32 v24, 0x3f1, v25
	v_cmp_gt_i32_e64 s2, 31, v26
	v_lshl_or_b32 v0, v0, 9, 0x7c00
	s_or_b32 s0, s1, s0
	v_or_b32_e32 v21, 0x1000, v7
	s_wait_alu 0xfffe
	v_add_co_ci_u32_e64 v22, s0, 0, v22, s0
	v_med3_i32 v24, v24, 0, 13
	v_cndmask_b32_e64 v13, 0x7c00, v13, s2
	v_cmp_eq_u32_e64 s0, 0x40f, v26
	v_lshrrev_b32_e32 v26, 16, v1
	v_mul_f16_e32 v1, v69, v17
	v_lshrrev_b32_e32 v27, v24, v21
	s_wait_alu 0xf1ff
	v_cndmask_b32_e64 v13, v13, v0, s0
	v_cmp_gt_i32_e64 s0, 31, v11
	v_fma_f16 v1, v68, v12, -v1
	v_lshlrev_b32_e32 v0, v24, v27
	s_delay_alu instid0(VALU_DEP_4)
	v_and_or_b32 v13, 0x8000, v26, v13
	s_wait_alu 0xf1ff
	v_cndmask_b32_e64 v22, 0x7c00, v22, s0
	v_cmp_ne_u32_e64 s0, 0, v28
	v_and_or_b32 v5, 0x1ff, v6, v5
	v_and_b32_e32 v13, 0xffff, v13
	s_wait_alu 0xf1ff
	s_delay_alu instid0(VALU_DEP_3) | instskip(SKIP_3) | instid1(VALU_DEP_4)
	v_cndmask_b32_e64 v17, 0, 1, s0
	v_cmp_ne_u32_e64 s0, v0, v21
	v_add_nc_u32_e32 v21, 0xfffffc10, v25
	v_cvt_f32_f16_e32 v25, v1
	v_lshl_or_b32 v12, v17, 9, 0x7c00
	s_wait_alu 0xf1ff
	v_cndmask_b32_e64 v0, 0, 1, s0
	v_cmp_ne_u32_e64 s0, 0, v5
	v_lshl_or_b32 v24, v21, 12, v7
	s_delay_alu instid0(VALU_DEP_3) | instskip(SKIP_1) | instid1(VALU_DEP_3)
	v_or_b32_e32 v17, v27, v0
	s_wait_alu 0xf1ff
	v_cndmask_b32_e64 v5, 0, 1, s0
	v_cmp_eq_u32_e64 s0, 0x40f, v11
	v_lshrrev_b32_e32 v27, 8, v6
	v_mul_f64_e32 v[0:1], s[12:13], v[9:10]
	v_cvt_f64_f32_e32 v[9:10], v25
	v_bfe_u32 v25, v6, 20, 11
	s_wait_alu 0xf1ff
	v_cndmask_b32_e64 v11, v22, v12, s0
	v_cmp_gt_i32_e64 s0, 1, v21
	v_and_or_b32 v5, 0xffe, v27, v5
	v_sub_nc_u32_e32 v12, 0x3f1, v25
	s_delay_alu instid0(VALU_DEP_4)
	v_and_or_b32 v14, 0x8000, v14, v11
	s_wait_alu 0xf1ff
	v_cndmask_b32_e64 v17, v24, v17, s0
	v_or_b32_e32 v24, 0x1000, v5
	v_add_co_u32 v11, s2, v19, s4
	v_med3_i32 v26, v12, 0, 13
	s_delay_alu instid0(VALU_DEP_4)
	v_and_b32_e32 v22, 7, v17
	v_lshrrev_b32_e32 v17, 2, v17
	s_wait_alu 0xf1ff
	v_add_co_ci_u32_e64 v12, s2, s5, v20, s2
	v_cmp_eq_u32_e64 s2, 0x40f, v21
	v_cmp_lt_i32_e64 s0, 5, v22
	v_cmp_eq_u32_e64 s1, 3, v22
	v_lshrrev_b32_e32 v22, v26, v24
	s_delay_alu instid0(VALU_DEP_2) | instskip(NEXT) | instid1(VALU_DEP_1)
	s_or_b32 s0, s1, s0
	v_lshlrev_b32_e32 v19, v26, v22
	v_lshl_or_b32 v26, v14, 16, v13
	s_wait_alu 0xfffe
	v_add_co_ci_u32_e64 v13, s0, 0, v17, s0
	v_lshrrev_b32_e32 v17, 16, v18
	v_cmp_ne_u32_e64 s0, v19, v24
	v_add_nc_u32_e32 v19, 0xfffffc10, v25
	s_wait_alu 0xf1ff
	s_delay_alu instid0(VALU_DEP_2) | instskip(SKIP_4) | instid1(VALU_DEP_3)
	v_cndmask_b32_e64 v14, 0, 1, s0
	v_cmp_gt_i32_e64 s0, 31, v21
	v_and_or_b32 v0, 0x1ff, v1, v0
	v_mul_f64_e32 v[9:10], s[12:13], v[9:10]
	s_wait_alu 0xf1ff
	v_cndmask_b32_e64 v20, 0x7c00, v13, s0
	v_cmp_ne_u32_e64 s0, 0, v7
	v_or_b32_e32 v13, v22, v14
	v_lshl_or_b32 v14, v19, 12, v5
	v_mul_f16_e32 v22, v67, v17
	s_wait_alu 0xf1ff
	v_cndmask_b32_e64 v7, 0, 1, s0
	v_cmp_gt_i32_e64 s0, 1, v19
	s_delay_alu instid0(VALU_DEP_3) | instskip(SKIP_1) | instid1(VALU_DEP_4)
	v_fmac_f16_e32 v22, v66, v18
	v_mul_f16_e32 v18, v67, v18
	v_lshl_or_b32 v7, v7, 9, 0x7c00
	s_wait_alu 0xf1ff
	v_cndmask_b32_e64 v24, v14, v13, s0
	v_cmp_ne_u32_e64 s0, 0, v0
	v_lshrrev_b32_e32 v13, 8, v1
	v_cvt_f32_f16_e32 v14, v22
	v_bfe_u32 v22, v1, 20, 11
	v_and_b32_e32 v25, 7, v24
	s_wait_alu 0xf1ff
	v_cndmask_b32_e64 v0, 0, 1, s0
	v_cndmask_b32_e64 v20, v20, v7, s2
	v_lshrrev_b32_e32 v7, 2, v24
	v_sub_nc_u32_e32 v27, 0x3f1, v22
	v_cmp_lt_i32_e64 s0, 5, v25
	v_and_or_b32 v0, 0xffe, v13, v0
	v_cvt_f64_f32_e32 v[13:14], v14
	v_cmp_eq_u32_e64 s1, 3, v25
	v_med3_i32 v27, v27, 0, 13
	v_fma_f16 v17, v66, v17, -v18
	v_or_b32_e32 v25, 0x1000, v0
	v_add_nc_u32_e32 v22, 0xfffffc10, v22
	s_or_b32 s0, s1, s0
	v_lshrrev_b32_e32 v1, 16, v1
	s_wait_alu 0xfffe
	v_add_co_ci_u32_e64 v7, s0, 0, v7, s0
	v_lshrrev_b32_e32 v21, v27, v25
	v_cvt_f32_f16_e32 v17, v17
	v_cmp_gt_i32_e64 s0, 31, v19
	s_delay_alu instid0(VALU_DEP_3) | instskip(NEXT) | instid1(VALU_DEP_3)
	v_lshlrev_b32_e32 v24, v27, v21
	v_cvt_f64_f32_e32 v[17:18], v17
	s_wait_alu 0xf1ff
	s_delay_alu instid0(VALU_DEP_3)
	v_cndmask_b32_e64 v28, 0x7c00, v7, s0
	v_lshrrev_b32_e32 v27, 16, v8
	v_and_or_b32 v8, 0x1ff, v10, v9
	v_cmp_ne_u32_e64 s0, v24, v25
	v_lshl_or_b32 v9, v22, 12, v0
	v_bfe_u32 v24, v10, 20, 11
	v_and_or_b32 v20, 0x8000, v27, v20
	s_wait_alu 0xf1ff
	v_cndmask_b32_e64 v7, 0, 1, s0
	v_cmp_ne_u32_e64 s0, 0, v5
	v_sub_nc_u32_e32 v25, 0x3f1, v24
	v_add_nc_u32_e32 v24, 0xfffffc10, v24
	s_delay_alu instid0(VALU_DEP_4)
	v_or_b32_e32 v7, v21, v7
	s_wait_alu 0xf1ff
	v_cndmask_b32_e64 v5, 0, 1, s0
	v_cmp_ne_u32_e64 s0, 0, v8
	v_lshrrev_b32_e32 v21, 8, v10
	v_med3_i32 v25, v25, 0, 13
	v_lshrrev_b32_e32 v10, 16, v10
	v_lshl_or_b32 v5, v5, 9, 0x7c00
	s_wait_alu 0xf1ff
	v_cndmask_b32_e64 v8, 0, 1, s0
	v_cmp_gt_i32_e64 s0, 1, v22
	s_delay_alu instid0(VALU_DEP_2) | instskip(SKIP_1) | instid1(VALU_DEP_2)
	v_and_or_b32 v21, 0xffe, v21, v8
	s_wait_alu 0xf1ff
	v_cndmask_b32_e64 v9, v9, v7, s0
	v_cmp_eq_u32_e64 s0, 0x40f, v19
	v_mul_f64_e32 v[7:8], s[12:13], v[13:14]
	v_lshrrev_b32_e32 v14, 16, v6
	s_delay_alu instid0(VALU_DEP_4)
	v_and_b32_e32 v19, 7, v9
	s_wait_alu 0xf1ff
	v_cndmask_b32_e64 v13, v28, v5, s0
	v_add_co_u32 v5, s0, v11, s4
	v_or_b32_e32 v28, 0x1000, v21
	s_wait_alu 0xf1ff
	v_add_co_ci_u32_e64 v6, s0, s5, v12, s0
	v_cmp_lt_i32_e64 s0, 5, v19
	v_cmp_eq_u32_e64 s1, 3, v19
	v_lshrrev_b32_e32 v9, 2, v9
	v_lshrrev_b32_e32 v29, v25, v28
	v_and_or_b32 v27, 0x8000, v14, v13
	v_mul_f64_e32 v[13:14], s[12:13], v[17:18]
	s_or_b32 s0, s1, s0
	v_and_b32_e32 v17, 0xffff, v20
	s_wait_alu 0xfffe
	v_add_co_ci_u32_e64 v9, s0, 0, v9, s0
	v_lshlrev_b32_e32 v18, v25, v29
	v_cmp_ne_u32_e64 s0, 0, v0
	v_lshl_or_b32 v25, v27, 16, v17
	s_wait_alu 0xf1ff
	s_delay_alu instid0(VALU_DEP_2) | instskip(SKIP_1) | instid1(VALU_DEP_2)
	v_cndmask_b32_e64 v0, 0, 1, s0
	v_cmp_ne_u32_e64 s0, v18, v28
	v_lshl_or_b32 v0, v0, 9, 0x7c00
	s_wait_alu 0xf1ff
	s_delay_alu instid0(VALU_DEP_2) | instskip(SKIP_1) | instid1(VALU_DEP_2)
	v_cndmask_b32_e64 v18, 0, 1, s0
	v_cmp_gt_i32_e64 s0, 31, v22
	v_or_b32_e32 v17, v29, v18
	s_wait_alu 0xf1ff
	s_delay_alu instid0(VALU_DEP_2)
	v_cndmask_b32_e64 v9, 0x7c00, v9, s0
	v_cmp_eq_u32_e64 s0, 0x40f, v22
	v_lshl_or_b32 v18, v24, 12, v21
	v_and_or_b32 v7, 0x1ff, v8, v7
	v_bfe_u32 v27, v8, 20, 11
	s_wait_alu 0xf1ff
	v_cndmask_b32_e64 v0, v9, v0, s0
	v_cmp_gt_i32_e64 s0, 1, v24
	s_delay_alu instid0(VALU_DEP_2) | instskip(SKIP_1) | instid1(VALU_DEP_2)
	v_and_or_b32 v22, 0x8000, v1, v0
	s_wait_alu 0xf1ff
	v_cndmask_b32_e64 v9, v18, v17, s0
	v_add_co_u32 v17, s0, v5, s4
	s_wait_alu 0xf1ff
	v_add_co_ci_u32_e64 v18, s0, s5, v6, s0
	v_cmp_ne_u32_e64 s0, 0, v7
	v_and_b32_e32 v0, 7, v9
	v_lshrrev_b32_e32 v7, 8, v8
	v_lshrrev_b32_e32 v19, 8, v14
	v_bfe_u32 v28, v14, 20, 11
	s_wait_alu 0xf1ff
	v_cndmask_b32_e64 v1, 0, 1, s0
	v_cmp_lt_i32_e64 s0, 5, v0
	v_cmp_eq_u32_e64 s1, 3, v0
	v_lshrrev_b32_e32 v0, 2, v9
	v_and_or_b32 v9, 0x1ff, v14, v13
	v_and_or_b32 v7, 0xffe, v7, v1
	v_sub_nc_u32_e32 v1, 0x3f1, v27
	s_or_b32 s0, s1, s0
	v_and_b32_e32 v22, 0xffff, v22
	s_wait_alu 0xfffe
	v_add_co_ci_u32_e64 v0, s0, 0, v0, s0
	v_or_b32_e32 v13, 0x1000, v7
	v_med3_i32 v1, v1, 0, 13
	v_cmp_ne_u32_e64 s0, 0, v9
	v_lshrrev_b32_e32 v8, 16, v8
	v_lshrrev_b32_e32 v14, 16, v14
	s_wait_alu 0xf1ff
	s_delay_alu instid0(VALU_DEP_3) | instskip(SKIP_2) | instid1(VALU_DEP_3)
	v_cndmask_b32_e64 v9, 0, 1, s0
	v_cmp_ne_u32_e64 s0, 0, v21
	v_lshrrev_b32_e32 v21, v1, v13
	v_and_or_b32 v9, 0xffe, v19, v9
	s_wait_alu 0xf1ff
	s_delay_alu instid0(VALU_DEP_3)
	v_cndmask_b32_e64 v20, 0, 1, s0
	v_sub_nc_u32_e32 v19, 0x3f1, v28
	v_cmp_gt_i32_e64 s0, 31, v24
	v_lshlrev_b32_e32 v1, v1, v21
	v_or_b32_e32 v30, 0x1000, v9
	v_lshl_or_b32 v29, v20, 9, 0x7c00
	v_med3_i32 v31, v19, 0, 13
	s_wait_alu 0xf1ff
	v_cndmask_b32_e64 v0, 0x7c00, v0, s0
	v_cmp_ne_u32_e64 s0, v1, v13
	v_add_nc_u32_e32 v13, 0xfffffc10, v27
	v_mad_co_u64_u32 v[19:20], null, s8, v65, 0
	v_lshrrev_b32_e32 v27, v31, v30
	s_wait_alu 0xf1ff
	v_cndmask_b32_e64 v1, 0, 1, s0
	v_cmp_eq_u32_e64 s0, 0x40f, v24
	v_add_nc_u32_e32 v28, 0xfffffc10, v28
	v_cmp_gt_i32_e64 s2, 31, v13
	s_delay_alu instid0(VALU_DEP_4)
	v_or_b32_e32 v1, v21, v1
	s_wait_alu 0xf1ff
	v_cndmask_b32_e64 v24, v0, v29, s0
	v_lshl_or_b32 v21, v13, 12, v7
	v_lshlrev_b32_e32 v29, v31, v27
	v_cmp_gt_i32_e64 s0, 1, v13
	v_mov_b32_e32 v0, v20
	v_cmp_gt_i32_e64 s1, 1, v28
	v_and_or_b32 v10, 0x8000, v10, v24
	s_wait_alu 0xf1ff
	v_cndmask_b32_e64 v21, v21, v1, s0
	v_cmp_ne_u32_e64 s0, v29, v30
	v_mad_co_u64_u32 v[0:1], null, s9, v65, v[0:1]
	s_delay_alu instid0(VALU_DEP_3) | instskip(SKIP_1) | instid1(VALU_DEP_3)
	v_and_b32_e32 v1, 7, v21
	s_wait_alu 0xf1ff
	v_cndmask_b32_e64 v20, 0, 1, s0
	s_delay_alu instid0(VALU_DEP_2) | instskip(NEXT) | instid1(VALU_DEP_2)
	v_cmp_lt_i32_e64 s0, 5, v1
	v_or_b32_e32 v20, v27, v20
	v_lshl_or_b32 v27, v28, 12, v9
	s_delay_alu instid0(VALU_DEP_1)
	v_cndmask_b32_e64 v24, v27, v20, s1
	v_cmp_eq_u32_e64 s1, 3, v1
	v_mov_b32_e32 v20, v0
	v_lshrrev_b32_e32 v0, 2, v21
	v_lshl_or_b32 v21, v10, 16, v22
	v_and_b32_e32 v1, 7, v24
	s_or_b32 s0, s1, s0
	s_wait_alu 0xfffe
	v_add_co_ci_u32_e64 v0, s0, 0, v0, s0
	v_cmp_ne_u32_e64 s0, 0, v7
	v_cmp_eq_u32_e64 s1, 3, v1
	s_delay_alu instid0(VALU_DEP_3) | instskip(SKIP_1) | instid1(VALU_DEP_3)
	v_cndmask_b32_e64 v10, 0x7c00, v0, s2
	s_wait_alu 0xf1ff
	v_cndmask_b32_e64 v7, 0, 1, s0
	v_cmp_lt_i32_e64 s0, 5, v1
	v_lshrrev_b32_e32 v1, 2, v24
	s_delay_alu instid0(VALU_DEP_3) | instskip(NEXT) | instid1(VALU_DEP_3)
	v_lshl_or_b32 v7, v7, 9, 0x7c00
	s_or_b32 s0, s1, s0
	s_wait_alu 0xfffe
	s_delay_alu instid0(VALU_DEP_2) | instskip(SKIP_3) | instid1(VALU_DEP_2)
	v_add_co_ci_u32_e64 v22, s0, 0, v1, s0
	v_cmp_ne_u32_e64 s0, 0, v9
	v_mad_co_u64_u32 v[0:1], null, 0x480, s8, v[17:18]
	s_wait_alu 0xf1ff
	v_cndmask_b32_e64 v9, 0, 1, s0
	v_cmp_gt_i32_e64 s0, 31, v28
	s_delay_alu instid0(VALU_DEP_2) | instskip(SKIP_1) | instid1(VALU_DEP_2)
	v_lshl_or_b32 v9, v9, 9, 0x7c00
	s_wait_alu 0xf1ff
	v_cndmask_b32_e64 v22, 0x7c00, v22, s0
	v_cmp_eq_u32_e64 s0, 0x40f, v13
	s_wait_alu 0xf1ff
	s_delay_alu instid0(VALU_DEP_1) | instskip(SKIP_2) | instid1(VALU_DEP_1)
	v_cndmask_b32_e64 v7, v10, v7, s0
	v_cmp_eq_u32_e64 s0, 0x40f, v28
	s_wait_alu 0xf1ff
	v_cndmask_b32_e64 v13, v22, v9, s0
	s_delay_alu instid0(VALU_DEP_3) | instskip(SKIP_2) | instid1(VALU_DEP_4)
	v_and_or_b32 v22, 0x8000, v8, v7
	v_mad_co_u64_u32 v[9:10], null, 0x480, s9, v[1:2]
	v_lshlrev_b64_e32 v[7:8], 2, v[19:20]
	v_and_or_b32 v1, 0x8000, v14, v13
	s_delay_alu instid0(VALU_DEP_4) | instskip(NEXT) | instid1(VALU_DEP_3)
	v_and_b32_e32 v10, 0xffff, v22
	v_add_co_u32 v3, s0, v3, v7
	s_delay_alu instid0(VALU_DEP_2)
	v_lshl_or_b32 v7, v1, 16, v10
	v_mov_b32_e32 v1, v9
	s_wait_alu 0xf1ff
	v_add_co_ci_u32_e64 v4, s0, v4, v8, s0
	global_store_b32 v[11:12], v23, off
	global_store_b32 v[5:6], v26, off
	;; [unrolled: 1-line block ×5, first 2 shown]
	s_and_b32 exec_lo, exec_lo, vcc_lo
	s_cbranch_execz .LBB0_31
; %bb.30:
	global_load_b32 v5, v[15:16], off offset:360
	ds_load_2addr_b32 v[3:4], v64 offset0:90 offset1:234
	v_mad_co_u64_u32 v[0:1], null, 0xffffed28, s8, v[0:1]
	s_wait_dscnt 0x0
	v_lshrrev_b32_e32 v6, 16, v3
	s_wait_loadcnt 0x0
	v_lshrrev_b32_e32 v7, 16, v5
	s_delay_alu instid0(VALU_DEP_1) | instskip(SKIP_1) | instid1(VALU_DEP_2)
	v_mul_f16_e32 v8, v6, v7
	v_mul_f16_e32 v7, v3, v7
	v_fmac_f16_e32 v8, v3, v5
	s_delay_alu instid0(VALU_DEP_2) | instskip(NEXT) | instid1(VALU_DEP_2)
	v_fma_f16 v3, v5, v6, -v7
	v_cvt_f32_f16_e32 v5, v8
	s_delay_alu instid0(VALU_DEP_2) | instskip(NEXT) | instid1(VALU_DEP_2)
	v_cvt_f32_f16_e32 v3, v3
	v_cvt_f64_f32_e32 v[5:6], v5
	s_delay_alu instid0(VALU_DEP_2) | instskip(NEXT) | instid1(VALU_DEP_2)
	v_cvt_f64_f32_e32 v[7:8], v3
	v_mul_f64_e32 v[5:6], s[12:13], v[5:6]
	s_delay_alu instid0(VALU_DEP_2) | instskip(NEXT) | instid1(VALU_DEP_2)
	v_mul_f64_e32 v[7:8], s[12:13], v[7:8]
	v_and_or_b32 v3, 0x1ff, v6, v5
	s_delay_alu instid0(VALU_DEP_2)
	v_and_or_b32 v7, 0x1ff, v8, v7
	v_lshrrev_b32_e32 v5, 8, v6
	v_bfe_u32 v9, v6, 20, 11
	v_lshrrev_b32_e32 v10, 8, v8
	v_cmp_ne_u32_e32 vcc_lo, 0, v3
	v_bfe_u32 v11, v8, 20, 11
	v_lshrrev_b32_e32 v6, 16, v6
	v_sub_nc_u32_e32 v12, 0x3f1, v9
	v_add_nc_u32_e32 v9, 0xfffffc10, v9
	s_wait_alu 0xfffd
	v_cndmask_b32_e64 v3, 0, 1, vcc_lo
	v_cmp_ne_u32_e32 vcc_lo, 0, v7
	v_lshrrev_b32_e32 v8, 16, v8
	s_delay_alu instid0(VALU_DEP_3) | instskip(SKIP_4) | instid1(VALU_DEP_3)
	v_and_or_b32 v3, 0xffe, v5, v3
	s_wait_alu 0xfffd
	v_cndmask_b32_e64 v7, 0, 1, vcc_lo
	v_sub_nc_u32_e32 v5, 0x3f1, v11
	v_add_nc_u32_e32 v11, 0xfffffc10, v11
	v_and_or_b32 v7, 0xffe, v10, v7
	v_med3_i32 v10, v12, 0, 13
	v_or_b32_e32 v12, 0x1000, v3
	v_med3_i32 v5, v5, 0, 13
	s_delay_alu instid0(VALU_DEP_4) | instskip(NEXT) | instid1(VALU_DEP_3)
	v_or_b32_e32 v13, 0x1000, v7
	v_lshrrev_b32_e32 v14, v10, v12
	s_delay_alu instid0(VALU_DEP_2) | instskip(NEXT) | instid1(VALU_DEP_2)
	v_lshrrev_b32_e32 v17, v5, v13
	v_lshlrev_b32_e32 v10, v10, v14
	s_delay_alu instid0(VALU_DEP_1) | instskip(SKIP_3) | instid1(VALU_DEP_1)
	v_cmp_ne_u32_e32 vcc_lo, v10, v12
	v_lshl_or_b32 v12, v9, 12, v3
	s_wait_alu 0xfffd
	v_cndmask_b32_e64 v10, 0, 1, vcc_lo
	v_or_b32_e32 v10, v14, v10
	v_lshlrev_b32_e32 v5, v5, v17
	s_delay_alu instid0(VALU_DEP_1) | instskip(SKIP_4) | instid1(VALU_DEP_2)
	v_cmp_ne_u32_e32 vcc_lo, v5, v13
	v_lshl_or_b32 v13, v11, 12, v7
	s_wait_alu 0xfffd
	v_cndmask_b32_e64 v5, 0, 1, vcc_lo
	v_cmp_gt_i32_e32 vcc_lo, 1, v9
	v_or_b32_e32 v5, v17, v5
	s_wait_alu 0xfffd
	v_cndmask_b32_e32 v10, v12, v10, vcc_lo
	v_cmp_gt_i32_e32 vcc_lo, 1, v11
	s_wait_alu 0xfffd
	s_delay_alu instid0(VALU_DEP_2) | instskip(SKIP_2) | instid1(VALU_DEP_3)
	v_dual_cndmask_b32 v5, v13, v5 :: v_dual_and_b32 v12, 7, v10
	v_cmp_ne_u32_e32 vcc_lo, 0, v3
	v_lshrrev_b32_e32 v10, 2, v10
	v_cmp_eq_u32_e64 s0, 3, v12
	s_wait_alu 0xfffd
	v_cndmask_b32_e64 v3, 0, 1, vcc_lo
	v_cmp_ne_u32_e32 vcc_lo, 0, v7
	s_delay_alu instid0(VALU_DEP_2) | instskip(SKIP_3) | instid1(VALU_DEP_2)
	v_lshl_or_b32 v3, v3, 9, 0x7c00
	s_wait_alu 0xfffd
	v_cndmask_b32_e64 v7, 0, 1, vcc_lo
	v_cmp_lt_i32_e32 vcc_lo, 5, v12
	v_lshl_or_b32 v7, v7, 9, 0x7c00
	s_or_b32 vcc_lo, s0, vcc_lo
	s_mul_i32 s0, s9, 0xffffed28
	s_wait_alu 0xfffe
	v_add_co_ci_u32_e32 v10, vcc_lo, 0, v10, vcc_lo
	v_and_b32_e32 v13, 7, v5
	v_lshrrev_b32_e32 v5, 2, v5
	s_sub_co_i32 s0, s0, s8
	s_wait_alu 0xfffe
	v_add_nc_u32_e32 v1, s0, v1
	v_cmp_lt_i32_e64 s1, 5, v13
	v_cmp_eq_u32_e64 s2, 3, v13
	s_delay_alu instid0(VALU_DEP_1)
	s_or_b32 vcc_lo, s2, s1
	s_wait_alu 0xfffe
	v_add_co_ci_u32_e32 v5, vcc_lo, 0, v5, vcc_lo
	v_cmp_gt_i32_e32 vcc_lo, 31, v9
	s_wait_alu 0xfffd
	v_cndmask_b32_e32 v10, 0x7c00, v10, vcc_lo
	v_cmp_gt_i32_e32 vcc_lo, 31, v11
	s_wait_alu 0xfffd
	v_cndmask_b32_e32 v5, 0x7c00, v5, vcc_lo
	v_cmp_eq_u32_e32 vcc_lo, 0x40f, v9
	s_wait_alu 0xfffd
	v_cndmask_b32_e32 v3, v10, v3, vcc_lo
	v_cmp_eq_u32_e32 vcc_lo, 0x40f, v11
	s_delay_alu instid0(VALU_DEP_2) | instskip(SKIP_2) | instid1(VALU_DEP_2)
	v_and_or_b32 v3, 0x8000, v6, v3
	s_wait_alu 0xfffd
	v_cndmask_b32_e32 v5, v5, v7, vcc_lo
	v_and_b32_e32 v3, 0xffff, v3
	s_delay_alu instid0(VALU_DEP_2) | instskip(NEXT) | instid1(VALU_DEP_1)
	v_and_or_b32 v5, 0x8000, v8, v5
	v_lshl_or_b32 v3, v5, 16, v3
	v_lshrrev_b32_e32 v5, 16, v4
	global_store_b32 v[0:1], v3, off
	global_load_b32 v3, v[15:16], off offset:936
	s_wait_loadcnt 0x0
	v_lshrrev_b32_e32 v6, 16, v3
	s_delay_alu instid0(VALU_DEP_1) | instskip(SKIP_1) | instid1(VALU_DEP_2)
	v_mul_f16_e32 v7, v5, v6
	v_mul_f16_e32 v6, v4, v6
	v_fmac_f16_e32 v7, v4, v3
	s_delay_alu instid0(VALU_DEP_2) | instskip(NEXT) | instid1(VALU_DEP_2)
	v_fma_f16 v3, v3, v5, -v6
	v_cvt_f32_f16_e32 v4, v7
	s_delay_alu instid0(VALU_DEP_2) | instskip(NEXT) | instid1(VALU_DEP_2)
	v_cvt_f32_f16_e32 v5, v3
	v_cvt_f64_f32_e32 v[3:4], v4
	s_delay_alu instid0(VALU_DEP_2) | instskip(NEXT) | instid1(VALU_DEP_2)
	v_cvt_f64_f32_e32 v[5:6], v5
	v_mul_f64_e32 v[3:4], s[12:13], v[3:4]
	s_delay_alu instid0(VALU_DEP_2) | instskip(NEXT) | instid1(VALU_DEP_2)
	v_mul_f64_e32 v[5:6], s[12:13], v[5:6]
	v_and_or_b32 v3, 0x1ff, v4, v3
	s_delay_alu instid0(VALU_DEP_2)
	v_and_or_b32 v5, 0x1ff, v6, v5
	v_lshrrev_b32_e32 v7, 8, v4
	v_bfe_u32 v8, v4, 20, 11
	v_lshrrev_b32_e32 v9, 8, v6
	v_cmp_ne_u32_e32 vcc_lo, 0, v3
	v_bfe_u32 v10, v6, 20, 11
	v_lshrrev_b32_e32 v4, 16, v4
	v_sub_nc_u32_e32 v11, 0x3f1, v8
	v_add_nc_u32_e32 v8, 0xfffffc10, v8
	s_wait_alu 0xfffd
	v_cndmask_b32_e64 v3, 0, 1, vcc_lo
	v_cmp_ne_u32_e32 vcc_lo, 0, v5
	v_lshrrev_b32_e32 v6, 16, v6
	s_delay_alu instid0(VALU_DEP_3) | instskip(SKIP_4) | instid1(VALU_DEP_3)
	v_and_or_b32 v3, 0xffe, v7, v3
	s_wait_alu 0xfffd
	v_cndmask_b32_e64 v5, 0, 1, vcc_lo
	v_sub_nc_u32_e32 v7, 0x3f1, v10
	v_add_nc_u32_e32 v10, 0xfffffc10, v10
	v_and_or_b32 v5, 0xffe, v9, v5
	v_med3_i32 v9, v11, 0, 13
	v_or_b32_e32 v11, 0x1000, v3
	v_med3_i32 v7, v7, 0, 13
	s_delay_alu instid0(VALU_DEP_4) | instskip(NEXT) | instid1(VALU_DEP_3)
	v_or_b32_e32 v12, 0x1000, v5
	v_lshrrev_b32_e32 v13, v9, v11
	s_delay_alu instid0(VALU_DEP_2) | instskip(NEXT) | instid1(VALU_DEP_2)
	v_lshrrev_b32_e32 v14, v7, v12
	v_lshlrev_b32_e32 v9, v9, v13
	s_delay_alu instid0(VALU_DEP_2) | instskip(NEXT) | instid1(VALU_DEP_2)
	v_lshlrev_b32_e32 v7, v7, v14
	v_cmp_ne_u32_e32 vcc_lo, v9, v11
	v_lshl_or_b32 v11, v8, 12, v3
	s_wait_alu 0xfffd
	v_cndmask_b32_e64 v9, 0, 1, vcc_lo
	v_cmp_ne_u32_e32 vcc_lo, v7, v12
	v_lshl_or_b32 v12, v10, 12, v5
	s_delay_alu instid0(VALU_DEP_3) | instskip(SKIP_3) | instid1(VALU_DEP_2)
	v_or_b32_e32 v9, v13, v9
	s_wait_alu 0xfffd
	v_cndmask_b32_e64 v7, 0, 1, vcc_lo
	v_cmp_gt_i32_e32 vcc_lo, 1, v8
	v_or_b32_e32 v7, v14, v7
	s_wait_alu 0xfffd
	v_cndmask_b32_e32 v9, v11, v9, vcc_lo
	v_cmp_gt_i32_e32 vcc_lo, 1, v10
	s_wait_alu 0xfffd
	v_cndmask_b32_e32 v7, v12, v7, vcc_lo
	v_cmp_ne_u32_e32 vcc_lo, 0, v3
	s_delay_alu instid0(VALU_DEP_2)
	v_and_b32_e32 v12, 7, v7
	s_wait_alu 0xfffd
	v_cndmask_b32_e64 v3, 0, 1, vcc_lo
	v_and_b32_e32 v11, 7, v9
	v_cmp_ne_u32_e32 vcc_lo, 0, v5
	v_lshrrev_b32_e32 v9, 2, v9
	v_cmp_lt_i32_e64 s1, 5, v12
	v_cmp_eq_u32_e64 s2, 3, v12
	v_cmp_eq_u32_e64 s0, 3, v11
	s_wait_alu 0xfffd
	v_cndmask_b32_e64 v5, 0, 1, vcc_lo
	v_cmp_lt_i32_e32 vcc_lo, 5, v11
	v_lshrrev_b32_e32 v7, 2, v7
	v_lshl_or_b32 v3, v3, 9, 0x7c00
	s_delay_alu instid0(VALU_DEP_4)
	v_lshl_or_b32 v5, v5, 9, 0x7c00
	s_or_b32 vcc_lo, s0, vcc_lo
	s_wait_alu 0xfffe
	v_add_co_ci_u32_e32 v9, vcc_lo, 0, v9, vcc_lo
	s_or_b32 vcc_lo, s2, s1
	s_wait_alu 0xfffe
	v_add_co_ci_u32_e32 v7, vcc_lo, 0, v7, vcc_lo
	v_cmp_gt_i32_e32 vcc_lo, 31, v8
	s_wait_alu 0xfffd
	v_cndmask_b32_e32 v9, 0x7c00, v9, vcc_lo
	v_cmp_gt_i32_e32 vcc_lo, 31, v10
	s_wait_alu 0xfffd
	v_cndmask_b32_e32 v7, 0x7c00, v7, vcc_lo
	v_cmp_eq_u32_e32 vcc_lo, 0x40f, v8
	s_wait_alu 0xfffd
	v_cndmask_b32_e32 v3, v9, v3, vcc_lo
	v_cmp_eq_u32_e32 vcc_lo, 0x40f, v10
	s_delay_alu instid0(VALU_DEP_2)
	v_and_or_b32 v3, 0x8000, v4, v3
	s_wait_alu 0xfffd
	v_cndmask_b32_e32 v5, v7, v5, vcc_lo
	v_add_co_u32 v0, vcc_lo, v0, s4
	s_wait_alu 0xfffd
	v_add_co_ci_u32_e32 v1, vcc_lo, s5, v1, vcc_lo
	s_delay_alu instid0(VALU_DEP_3) | instskip(SKIP_1) | instid1(VALU_DEP_1)
	v_and_or_b32 v4, 0x8000, v6, v5
	v_and_b32_e32 v3, 0xffff, v3
	v_lshl_or_b32 v3, v4, 16, v3
	global_store_b32 v[0:1], v3, off
	global_load_b32 v5, v[15:16], off offset:1512
	v_add_nc_u32_e32 v3, 0x500, v64
	ds_load_2addr_b32 v[3:4], v3 offset0:58 offset1:202
	s_wait_dscnt 0x0
	v_lshrrev_b32_e32 v6, 16, v3
	s_wait_loadcnt 0x0
	v_lshrrev_b32_e32 v7, 16, v5
	s_delay_alu instid0(VALU_DEP_1) | instskip(SKIP_1) | instid1(VALU_DEP_2)
	v_mul_f16_e32 v8, v6, v7
	v_mul_f16_e32 v7, v3, v7
	v_fmac_f16_e32 v8, v3, v5
	s_delay_alu instid0(VALU_DEP_2) | instskip(NEXT) | instid1(VALU_DEP_2)
	v_fma_f16 v3, v5, v6, -v7
	v_cvt_f32_f16_e32 v5, v8
	s_delay_alu instid0(VALU_DEP_2) | instskip(NEXT) | instid1(VALU_DEP_2)
	v_cvt_f32_f16_e32 v3, v3
	v_cvt_f64_f32_e32 v[5:6], v5
	s_delay_alu instid0(VALU_DEP_2) | instskip(NEXT) | instid1(VALU_DEP_2)
	v_cvt_f64_f32_e32 v[7:8], v3
	v_mul_f64_e32 v[5:6], s[12:13], v[5:6]
	s_delay_alu instid0(VALU_DEP_2) | instskip(NEXT) | instid1(VALU_DEP_2)
	v_mul_f64_e32 v[7:8], s[12:13], v[7:8]
	v_and_or_b32 v3, 0x1ff, v6, v5
	s_delay_alu instid0(VALU_DEP_2)
	v_and_or_b32 v7, 0x1ff, v8, v7
	v_lshrrev_b32_e32 v5, 8, v6
	v_bfe_u32 v9, v6, 20, 11
	v_lshrrev_b32_e32 v10, 8, v8
	v_cmp_ne_u32_e32 vcc_lo, 0, v3
	v_bfe_u32 v11, v8, 20, 11
	v_lshrrev_b32_e32 v6, 16, v6
	v_sub_nc_u32_e32 v12, 0x3f1, v9
	v_add_nc_u32_e32 v9, 0xfffffc10, v9
	s_wait_alu 0xfffd
	v_cndmask_b32_e64 v3, 0, 1, vcc_lo
	v_cmp_ne_u32_e32 vcc_lo, 0, v7
	v_lshrrev_b32_e32 v8, 16, v8
	s_delay_alu instid0(VALU_DEP_3) | instskip(SKIP_4) | instid1(VALU_DEP_3)
	v_and_or_b32 v3, 0xffe, v5, v3
	s_wait_alu 0xfffd
	v_cndmask_b32_e64 v7, 0, 1, vcc_lo
	v_sub_nc_u32_e32 v5, 0x3f1, v11
	v_add_nc_u32_e32 v11, 0xfffffc10, v11
	v_and_or_b32 v7, 0xffe, v10, v7
	v_med3_i32 v10, v12, 0, 13
	v_or_b32_e32 v12, 0x1000, v3
	v_med3_i32 v5, v5, 0, 13
	s_delay_alu instid0(VALU_DEP_4) | instskip(NEXT) | instid1(VALU_DEP_3)
	v_or_b32_e32 v13, 0x1000, v7
	v_lshrrev_b32_e32 v14, v10, v12
	s_delay_alu instid0(VALU_DEP_2) | instskip(NEXT) | instid1(VALU_DEP_2)
	v_lshrrev_b32_e32 v17, v5, v13
	v_lshlrev_b32_e32 v10, v10, v14
	s_delay_alu instid0(VALU_DEP_2) | instskip(NEXT) | instid1(VALU_DEP_2)
	v_lshlrev_b32_e32 v5, v5, v17
	v_cmp_ne_u32_e32 vcc_lo, v10, v12
	v_lshl_or_b32 v12, v9, 12, v3
	s_wait_alu 0xfffd
	v_cndmask_b32_e64 v10, 0, 1, vcc_lo
	v_cmp_ne_u32_e32 vcc_lo, v5, v13
	v_lshl_or_b32 v13, v11, 12, v7
	s_delay_alu instid0(VALU_DEP_3) | instskip(SKIP_3) | instid1(VALU_DEP_2)
	v_or_b32_e32 v10, v14, v10
	s_wait_alu 0xfffd
	v_cndmask_b32_e64 v5, 0, 1, vcc_lo
	v_cmp_gt_i32_e32 vcc_lo, 1, v9
	v_or_b32_e32 v5, v17, v5
	s_wait_alu 0xfffd
	v_cndmask_b32_e32 v10, v12, v10, vcc_lo
	v_cmp_gt_i32_e32 vcc_lo, 1, v11
	s_wait_alu 0xfffd
	s_delay_alu instid0(VALU_DEP_2) | instskip(SKIP_2) | instid1(VALU_DEP_3)
	v_dual_cndmask_b32 v5, v13, v5 :: v_dual_and_b32 v12, 7, v10
	v_cmp_ne_u32_e32 vcc_lo, 0, v3
	v_lshrrev_b32_e32 v10, 2, v10
	v_cmp_eq_u32_e64 s0, 3, v12
	s_delay_alu instid0(VALU_DEP_4)
	v_and_b32_e32 v13, 7, v5
	s_wait_alu 0xfffd
	v_cndmask_b32_e64 v3, 0, 1, vcc_lo
	v_cmp_ne_u32_e32 vcc_lo, 0, v7
	v_lshrrev_b32_e32 v5, 2, v5
	v_cmp_lt_i32_e64 s1, 5, v13
	v_cmp_eq_u32_e64 s2, 3, v13
	s_wait_alu 0xfffd
	v_cndmask_b32_e64 v7, 0, 1, vcc_lo
	v_cmp_lt_i32_e32 vcc_lo, 5, v12
	v_lshl_or_b32 v3, v3, 9, 0x7c00
	s_delay_alu instid0(VALU_DEP_3)
	v_lshl_or_b32 v7, v7, 9, 0x7c00
	s_or_b32 vcc_lo, s0, vcc_lo
	s_wait_alu 0xfffe
	v_add_co_ci_u32_e32 v10, vcc_lo, 0, v10, vcc_lo
	s_or_b32 vcc_lo, s2, s1
	s_wait_alu 0xfffe
	v_add_co_ci_u32_e32 v5, vcc_lo, 0, v5, vcc_lo
	v_cmp_gt_i32_e32 vcc_lo, 31, v9
	s_wait_alu 0xfffd
	v_cndmask_b32_e32 v10, 0x7c00, v10, vcc_lo
	v_cmp_gt_i32_e32 vcc_lo, 31, v11
	s_wait_alu 0xfffd
	v_cndmask_b32_e32 v5, 0x7c00, v5, vcc_lo
	v_cmp_eq_u32_e32 vcc_lo, 0x40f, v9
	s_wait_alu 0xfffd
	v_cndmask_b32_e32 v3, v10, v3, vcc_lo
	v_cmp_eq_u32_e32 vcc_lo, 0x40f, v11
	s_delay_alu instid0(VALU_DEP_2)
	v_and_or_b32 v3, 0x8000, v6, v3
	s_wait_alu 0xfffd
	v_cndmask_b32_e32 v5, v5, v7, vcc_lo
	v_add_co_u32 v0, vcc_lo, v0, s4
	s_wait_alu 0xfffd
	v_add_co_ci_u32_e32 v1, vcc_lo, s5, v1, vcc_lo
	s_delay_alu instid0(VALU_DEP_3) | instskip(SKIP_1) | instid1(VALU_DEP_1)
	v_and_or_b32 v5, 0x8000, v8, v5
	v_and_b32_e32 v3, 0xffff, v3
	v_lshl_or_b32 v3, v5, 16, v3
	v_lshrrev_b32_e32 v5, 16, v4
	global_store_b32 v[0:1], v3, off
	global_load_b32 v3, v[15:16], off offset:2088
	s_wait_loadcnt 0x0
	v_lshrrev_b32_e32 v6, 16, v3
	s_delay_alu instid0(VALU_DEP_1) | instskip(SKIP_1) | instid1(VALU_DEP_2)
	v_mul_f16_e32 v7, v5, v6
	v_mul_f16_e32 v6, v4, v6
	v_fmac_f16_e32 v7, v4, v3
	s_delay_alu instid0(VALU_DEP_2) | instskip(NEXT) | instid1(VALU_DEP_2)
	v_fma_f16 v3, v3, v5, -v6
	v_cvt_f32_f16_e32 v4, v7
	s_delay_alu instid0(VALU_DEP_2) | instskip(NEXT) | instid1(VALU_DEP_2)
	v_cvt_f32_f16_e32 v5, v3
	v_cvt_f64_f32_e32 v[3:4], v4
	s_delay_alu instid0(VALU_DEP_2) | instskip(NEXT) | instid1(VALU_DEP_2)
	v_cvt_f64_f32_e32 v[5:6], v5
	v_mul_f64_e32 v[3:4], s[12:13], v[3:4]
	s_delay_alu instid0(VALU_DEP_2) | instskip(NEXT) | instid1(VALU_DEP_2)
	v_mul_f64_e32 v[5:6], s[12:13], v[5:6]
	v_and_or_b32 v3, 0x1ff, v4, v3
	s_delay_alu instid0(VALU_DEP_2)
	v_and_or_b32 v5, 0x1ff, v6, v5
	v_lshrrev_b32_e32 v7, 8, v4
	v_bfe_u32 v8, v4, 20, 11
	v_lshrrev_b32_e32 v9, 8, v6
	v_cmp_ne_u32_e32 vcc_lo, 0, v3
	v_bfe_u32 v10, v6, 20, 11
	v_lshrrev_b32_e32 v4, 16, v4
	v_sub_nc_u32_e32 v11, 0x3f1, v8
	v_add_nc_u32_e32 v8, 0xfffffc10, v8
	s_wait_alu 0xfffd
	v_cndmask_b32_e64 v3, 0, 1, vcc_lo
	v_cmp_ne_u32_e32 vcc_lo, 0, v5
	v_lshrrev_b32_e32 v6, 16, v6
	s_delay_alu instid0(VALU_DEP_3) | instskip(SKIP_4) | instid1(VALU_DEP_3)
	v_and_or_b32 v3, 0xffe, v7, v3
	s_wait_alu 0xfffd
	v_cndmask_b32_e64 v5, 0, 1, vcc_lo
	v_sub_nc_u32_e32 v7, 0x3f1, v10
	v_add_nc_u32_e32 v10, 0xfffffc10, v10
	v_and_or_b32 v5, 0xffe, v9, v5
	v_med3_i32 v9, v11, 0, 13
	v_or_b32_e32 v11, 0x1000, v3
	v_med3_i32 v7, v7, 0, 13
	s_delay_alu instid0(VALU_DEP_4) | instskip(NEXT) | instid1(VALU_DEP_3)
	v_or_b32_e32 v12, 0x1000, v5
	v_lshrrev_b32_e32 v13, v9, v11
	s_delay_alu instid0(VALU_DEP_2) | instskip(NEXT) | instid1(VALU_DEP_2)
	v_lshrrev_b32_e32 v14, v7, v12
	v_lshlrev_b32_e32 v9, v9, v13
	s_delay_alu instid0(VALU_DEP_2) | instskip(NEXT) | instid1(VALU_DEP_2)
	v_lshlrev_b32_e32 v7, v7, v14
	v_cmp_ne_u32_e32 vcc_lo, v9, v11
	v_lshl_or_b32 v11, v8, 12, v3
	s_wait_alu 0xfffd
	v_cndmask_b32_e64 v9, 0, 1, vcc_lo
	v_cmp_ne_u32_e32 vcc_lo, v7, v12
	v_lshl_or_b32 v12, v10, 12, v5
	s_delay_alu instid0(VALU_DEP_3) | instskip(SKIP_3) | instid1(VALU_DEP_2)
	v_or_b32_e32 v9, v13, v9
	s_wait_alu 0xfffd
	v_cndmask_b32_e64 v7, 0, 1, vcc_lo
	v_cmp_gt_i32_e32 vcc_lo, 1, v8
	v_or_b32_e32 v7, v14, v7
	s_wait_alu 0xfffd
	v_cndmask_b32_e32 v9, v11, v9, vcc_lo
	v_cmp_gt_i32_e32 vcc_lo, 1, v10
	s_delay_alu instid0(VALU_DEP_2)
	v_and_b32_e32 v11, 7, v9
	s_wait_alu 0xfffd
	v_cndmask_b32_e32 v7, v12, v7, vcc_lo
	v_cmp_ne_u32_e32 vcc_lo, 0, v3
	v_lshrrev_b32_e32 v9, 2, v9
	v_cmp_eq_u32_e64 s0, 3, v11
	s_delay_alu instid0(VALU_DEP_4)
	v_and_b32_e32 v12, 7, v7
	s_wait_alu 0xfffd
	v_cndmask_b32_e64 v3, 0, 1, vcc_lo
	v_cmp_ne_u32_e32 vcc_lo, 0, v5
	v_lshrrev_b32_e32 v7, 2, v7
	v_cmp_lt_i32_e64 s1, 5, v12
	v_cmp_eq_u32_e64 s2, 3, v12
	s_wait_alu 0xfffd
	v_cndmask_b32_e64 v5, 0, 1, vcc_lo
	v_cmp_lt_i32_e32 vcc_lo, 5, v11
	v_lshl_or_b32 v3, v3, 9, 0x7c00
	s_delay_alu instid0(VALU_DEP_3)
	v_lshl_or_b32 v5, v5, 9, 0x7c00
	s_or_b32 vcc_lo, s0, vcc_lo
	s_wait_alu 0xfffe
	v_add_co_ci_u32_e32 v9, vcc_lo, 0, v9, vcc_lo
	s_or_b32 vcc_lo, s2, s1
	s_wait_alu 0xfffe
	v_add_co_ci_u32_e32 v7, vcc_lo, 0, v7, vcc_lo
	v_cmp_gt_i32_e32 vcc_lo, 31, v8
	s_wait_alu 0xfffd
	v_cndmask_b32_e32 v9, 0x7c00, v9, vcc_lo
	v_cmp_gt_i32_e32 vcc_lo, 31, v10
	s_wait_alu 0xfffd
	v_cndmask_b32_e32 v7, 0x7c00, v7, vcc_lo
	v_cmp_eq_u32_e32 vcc_lo, 0x40f, v8
	s_wait_alu 0xfffd
	v_cndmask_b32_e32 v3, v9, v3, vcc_lo
	v_cmp_eq_u32_e32 vcc_lo, 0x40f, v10
	s_delay_alu instid0(VALU_DEP_2)
	v_and_or_b32 v3, 0x8000, v4, v3
	s_wait_alu 0xfffd
	v_cndmask_b32_e32 v5, v7, v5, vcc_lo
	v_add_co_u32 v0, vcc_lo, v0, s4
	s_wait_alu 0xfffd
	v_add_co_ci_u32_e32 v1, vcc_lo, s5, v1, vcc_lo
	s_delay_alu instid0(VALU_DEP_3) | instskip(SKIP_1) | instid1(VALU_DEP_1)
	v_and_or_b32 v4, 0x8000, v6, v5
	v_and_b32_e32 v3, 0xffff, v3
	v_lshl_or_b32 v3, v4, 16, v3
	global_store_b32 v[0:1], v3, off
	global_load_b32 v5, v[15:16], off offset:2664
	v_add_nc_u32_e32 v3, 0xa00, v64
	ds_load_2addr_b32 v[3:4], v3 offset0:26 offset1:170
	s_wait_dscnt 0x0
	v_lshrrev_b32_e32 v6, 16, v3
	s_wait_loadcnt 0x0
	v_lshrrev_b32_e32 v7, 16, v5
	s_delay_alu instid0(VALU_DEP_1) | instskip(SKIP_1) | instid1(VALU_DEP_2)
	v_mul_f16_e32 v8, v6, v7
	v_mul_f16_e32 v7, v3, v7
	v_fmac_f16_e32 v8, v3, v5
	s_delay_alu instid0(VALU_DEP_2) | instskip(NEXT) | instid1(VALU_DEP_2)
	v_fma_f16 v3, v5, v6, -v7
	v_cvt_f32_f16_e32 v5, v8
	s_delay_alu instid0(VALU_DEP_2) | instskip(NEXT) | instid1(VALU_DEP_2)
	v_cvt_f32_f16_e32 v3, v3
	v_cvt_f64_f32_e32 v[5:6], v5
	s_delay_alu instid0(VALU_DEP_2) | instskip(NEXT) | instid1(VALU_DEP_2)
	v_cvt_f64_f32_e32 v[7:8], v3
	v_mul_f64_e32 v[5:6], s[12:13], v[5:6]
	s_delay_alu instid0(VALU_DEP_2) | instskip(NEXT) | instid1(VALU_DEP_2)
	v_mul_f64_e32 v[7:8], s[12:13], v[7:8]
	v_and_or_b32 v3, 0x1ff, v6, v5
	s_delay_alu instid0(VALU_DEP_2)
	v_and_or_b32 v7, 0x1ff, v8, v7
	v_lshrrev_b32_e32 v5, 8, v6
	v_bfe_u32 v9, v6, 20, 11
	v_lshrrev_b32_e32 v10, 8, v8
	v_cmp_ne_u32_e32 vcc_lo, 0, v3
	v_bfe_u32 v11, v8, 20, 11
	v_lshrrev_b32_e32 v6, 16, v6
	v_sub_nc_u32_e32 v12, 0x3f1, v9
	v_add_nc_u32_e32 v9, 0xfffffc10, v9
	s_wait_alu 0xfffd
	v_cndmask_b32_e64 v3, 0, 1, vcc_lo
	v_cmp_ne_u32_e32 vcc_lo, 0, v7
	v_lshrrev_b32_e32 v8, 16, v8
	s_delay_alu instid0(VALU_DEP_3) | instskip(SKIP_4) | instid1(VALU_DEP_3)
	v_and_or_b32 v3, 0xffe, v5, v3
	s_wait_alu 0xfffd
	v_cndmask_b32_e64 v7, 0, 1, vcc_lo
	v_sub_nc_u32_e32 v5, 0x3f1, v11
	v_add_nc_u32_e32 v11, 0xfffffc10, v11
	v_and_or_b32 v7, 0xffe, v10, v7
	v_med3_i32 v10, v12, 0, 13
	v_or_b32_e32 v12, 0x1000, v3
	v_med3_i32 v5, v5, 0, 13
	s_delay_alu instid0(VALU_DEP_4) | instskip(NEXT) | instid1(VALU_DEP_3)
	v_or_b32_e32 v13, 0x1000, v7
	v_lshrrev_b32_e32 v14, v10, v12
	s_delay_alu instid0(VALU_DEP_2) | instskip(NEXT) | instid1(VALU_DEP_2)
	v_lshrrev_b32_e32 v17, v5, v13
	v_lshlrev_b32_e32 v10, v10, v14
	s_delay_alu instid0(VALU_DEP_2) | instskip(NEXT) | instid1(VALU_DEP_2)
	v_lshlrev_b32_e32 v5, v5, v17
	v_cmp_ne_u32_e32 vcc_lo, v10, v12
	v_lshl_or_b32 v12, v9, 12, v3
	s_wait_alu 0xfffd
	v_cndmask_b32_e64 v10, 0, 1, vcc_lo
	v_cmp_ne_u32_e32 vcc_lo, v5, v13
	v_lshl_or_b32 v13, v11, 12, v7
	s_delay_alu instid0(VALU_DEP_3) | instskip(SKIP_3) | instid1(VALU_DEP_2)
	v_or_b32_e32 v10, v14, v10
	s_wait_alu 0xfffd
	v_cndmask_b32_e64 v5, 0, 1, vcc_lo
	v_cmp_gt_i32_e32 vcc_lo, 1, v9
	v_or_b32_e32 v5, v17, v5
	s_wait_alu 0xfffd
	v_cndmask_b32_e32 v10, v12, v10, vcc_lo
	v_cmp_gt_i32_e32 vcc_lo, 1, v11
	s_wait_alu 0xfffd
	s_delay_alu instid0(VALU_DEP_2) | instskip(SKIP_2) | instid1(VALU_DEP_3)
	v_dual_cndmask_b32 v5, v13, v5 :: v_dual_and_b32 v12, 7, v10
	v_cmp_ne_u32_e32 vcc_lo, 0, v3
	v_lshrrev_b32_e32 v10, 2, v10
	v_cmp_eq_u32_e64 s0, 3, v12
	s_delay_alu instid0(VALU_DEP_4)
	v_and_b32_e32 v13, 7, v5
	s_wait_alu 0xfffd
	v_cndmask_b32_e64 v3, 0, 1, vcc_lo
	v_cmp_ne_u32_e32 vcc_lo, 0, v7
	v_lshrrev_b32_e32 v5, 2, v5
	v_cmp_lt_i32_e64 s1, 5, v13
	v_cmp_eq_u32_e64 s2, 3, v13
	s_wait_alu 0xfffd
	v_cndmask_b32_e64 v7, 0, 1, vcc_lo
	v_cmp_lt_i32_e32 vcc_lo, 5, v12
	v_lshl_or_b32 v3, v3, 9, 0x7c00
	s_delay_alu instid0(VALU_DEP_3)
	v_lshl_or_b32 v7, v7, 9, 0x7c00
	s_or_b32 vcc_lo, s0, vcc_lo
	s_wait_alu 0xfffe
	v_add_co_ci_u32_e32 v10, vcc_lo, 0, v10, vcc_lo
	s_or_b32 vcc_lo, s2, s1
	s_wait_alu 0xfffe
	v_add_co_ci_u32_e32 v5, vcc_lo, 0, v5, vcc_lo
	v_cmp_gt_i32_e32 vcc_lo, 31, v9
	s_wait_alu 0xfffd
	v_cndmask_b32_e32 v10, 0x7c00, v10, vcc_lo
	v_cmp_gt_i32_e32 vcc_lo, 31, v11
	s_wait_alu 0xfffd
	v_cndmask_b32_e32 v5, 0x7c00, v5, vcc_lo
	v_cmp_eq_u32_e32 vcc_lo, 0x40f, v9
	s_wait_alu 0xfffd
	v_cndmask_b32_e32 v3, v10, v3, vcc_lo
	v_cmp_eq_u32_e32 vcc_lo, 0x40f, v11
	s_delay_alu instid0(VALU_DEP_2)
	v_and_or_b32 v3, 0x8000, v6, v3
	s_wait_alu 0xfffd
	v_cndmask_b32_e32 v5, v5, v7, vcc_lo
	v_add_co_u32 v0, vcc_lo, v0, s4
	s_wait_alu 0xfffd
	v_add_co_ci_u32_e32 v1, vcc_lo, s5, v1, vcc_lo
	s_delay_alu instid0(VALU_DEP_3) | instskip(SKIP_1) | instid1(VALU_DEP_1)
	v_and_or_b32 v5, 0x8000, v8, v5
	v_and_b32_e32 v3, 0xffff, v3
	v_lshl_or_b32 v3, v5, 16, v3
	v_lshrrev_b32_e32 v5, 16, v4
	global_store_b32 v[0:1], v3, off
	global_load_b32 v3, v[15:16], off offset:3240
	s_wait_loadcnt 0x0
	v_lshrrev_b32_e32 v6, 16, v3
	s_delay_alu instid0(VALU_DEP_1) | instskip(SKIP_1) | instid1(VALU_DEP_2)
	v_mul_f16_e32 v7, v5, v6
	v_mul_f16_e32 v6, v4, v6
	v_fmac_f16_e32 v7, v4, v3
	s_delay_alu instid0(VALU_DEP_2) | instskip(NEXT) | instid1(VALU_DEP_2)
	v_fma_f16 v3, v3, v5, -v6
	v_cvt_f32_f16_e32 v4, v7
	s_delay_alu instid0(VALU_DEP_2) | instskip(NEXT) | instid1(VALU_DEP_2)
	v_cvt_f32_f16_e32 v5, v3
	v_cvt_f64_f32_e32 v[3:4], v4
	s_delay_alu instid0(VALU_DEP_2) | instskip(NEXT) | instid1(VALU_DEP_2)
	v_cvt_f64_f32_e32 v[5:6], v5
	v_mul_f64_e32 v[3:4], s[12:13], v[3:4]
	s_delay_alu instid0(VALU_DEP_2) | instskip(NEXT) | instid1(VALU_DEP_2)
	v_mul_f64_e32 v[5:6], s[12:13], v[5:6]
	v_and_or_b32 v3, 0x1ff, v4, v3
	s_delay_alu instid0(VALU_DEP_2)
	v_and_or_b32 v5, 0x1ff, v6, v5
	v_lshrrev_b32_e32 v7, 8, v4
	v_bfe_u32 v8, v4, 20, 11
	v_lshrrev_b32_e32 v9, 8, v6
	v_cmp_ne_u32_e32 vcc_lo, 0, v3
	v_bfe_u32 v10, v6, 20, 11
	v_lshrrev_b32_e32 v4, 16, v4
	v_sub_nc_u32_e32 v11, 0x3f1, v8
	v_add_nc_u32_e32 v8, 0xfffffc10, v8
	s_wait_alu 0xfffd
	v_cndmask_b32_e64 v3, 0, 1, vcc_lo
	v_cmp_ne_u32_e32 vcc_lo, 0, v5
	v_lshrrev_b32_e32 v6, 16, v6
	s_delay_alu instid0(VALU_DEP_3) | instskip(SKIP_4) | instid1(VALU_DEP_3)
	v_and_or_b32 v3, 0xffe, v7, v3
	s_wait_alu 0xfffd
	v_cndmask_b32_e64 v5, 0, 1, vcc_lo
	v_sub_nc_u32_e32 v7, 0x3f1, v10
	v_add_nc_u32_e32 v10, 0xfffffc10, v10
	v_and_or_b32 v5, 0xffe, v9, v5
	v_med3_i32 v9, v11, 0, 13
	v_or_b32_e32 v11, 0x1000, v3
	v_med3_i32 v7, v7, 0, 13
	s_delay_alu instid0(VALU_DEP_4) | instskip(NEXT) | instid1(VALU_DEP_3)
	v_or_b32_e32 v12, 0x1000, v5
	v_lshrrev_b32_e32 v13, v9, v11
	s_delay_alu instid0(VALU_DEP_2) | instskip(NEXT) | instid1(VALU_DEP_2)
	v_lshrrev_b32_e32 v14, v7, v12
	v_lshlrev_b32_e32 v9, v9, v13
	s_delay_alu instid0(VALU_DEP_2) | instskip(NEXT) | instid1(VALU_DEP_2)
	v_lshlrev_b32_e32 v7, v7, v14
	v_cmp_ne_u32_e32 vcc_lo, v9, v11
	v_lshl_or_b32 v11, v8, 12, v3
	s_wait_alu 0xfffd
	v_cndmask_b32_e64 v9, 0, 1, vcc_lo
	v_cmp_ne_u32_e32 vcc_lo, v7, v12
	v_lshl_or_b32 v12, v10, 12, v5
	s_delay_alu instid0(VALU_DEP_3) | instskip(SKIP_3) | instid1(VALU_DEP_2)
	v_or_b32_e32 v9, v13, v9
	s_wait_alu 0xfffd
	v_cndmask_b32_e64 v7, 0, 1, vcc_lo
	v_cmp_gt_i32_e32 vcc_lo, 1, v8
	v_or_b32_e32 v7, v14, v7
	s_wait_alu 0xfffd
	v_cndmask_b32_e32 v9, v11, v9, vcc_lo
	v_cmp_gt_i32_e32 vcc_lo, 1, v10
	s_delay_alu instid0(VALU_DEP_2)
	v_and_b32_e32 v11, 7, v9
	s_wait_alu 0xfffd
	v_cndmask_b32_e32 v7, v12, v7, vcc_lo
	v_cmp_ne_u32_e32 vcc_lo, 0, v3
	v_lshrrev_b32_e32 v9, 2, v9
	v_cmp_eq_u32_e64 s0, 3, v11
	s_delay_alu instid0(VALU_DEP_4)
	v_and_b32_e32 v12, 7, v7
	s_wait_alu 0xfffd
	v_cndmask_b32_e64 v3, 0, 1, vcc_lo
	v_cmp_ne_u32_e32 vcc_lo, 0, v5
	v_lshrrev_b32_e32 v7, 2, v7
	v_cmp_lt_i32_e64 s1, 5, v12
	v_cmp_eq_u32_e64 s2, 3, v12
	s_wait_alu 0xfffd
	v_cndmask_b32_e64 v5, 0, 1, vcc_lo
	v_cmp_lt_i32_e32 vcc_lo, 5, v11
	v_lshl_or_b32 v3, v3, 9, 0x7c00
	s_delay_alu instid0(VALU_DEP_3)
	v_lshl_or_b32 v5, v5, 9, 0x7c00
	s_or_b32 vcc_lo, s0, vcc_lo
	s_wait_alu 0xfffe
	v_add_co_ci_u32_e32 v9, vcc_lo, 0, v9, vcc_lo
	s_or_b32 vcc_lo, s2, s1
	s_wait_alu 0xfffe
	v_add_co_ci_u32_e32 v7, vcc_lo, 0, v7, vcc_lo
	v_cmp_gt_i32_e32 vcc_lo, 31, v8
	s_wait_alu 0xfffd
	v_cndmask_b32_e32 v9, 0x7c00, v9, vcc_lo
	v_cmp_gt_i32_e32 vcc_lo, 31, v10
	s_wait_alu 0xfffd
	v_cndmask_b32_e32 v7, 0x7c00, v7, vcc_lo
	v_cmp_eq_u32_e32 vcc_lo, 0x40f, v8
	s_wait_alu 0xfffd
	v_cndmask_b32_e32 v3, v9, v3, vcc_lo
	v_cmp_eq_u32_e32 vcc_lo, 0x40f, v10
	s_delay_alu instid0(VALU_DEP_2)
	v_and_or_b32 v3, 0x8000, v4, v3
	s_wait_alu 0xfffd
	v_cndmask_b32_e32 v5, v7, v5, vcc_lo
	v_add_co_u32 v0, vcc_lo, v0, s4
	s_wait_alu 0xfffd
	v_add_co_ci_u32_e32 v1, vcc_lo, s5, v1, vcc_lo
	s_delay_alu instid0(VALU_DEP_3) | instskip(SKIP_1) | instid1(VALU_DEP_1)
	v_and_or_b32 v4, 0x8000, v6, v5
	v_and_b32_e32 v3, 0xffff, v3
	v_lshl_or_b32 v3, v4, 16, v3
	global_store_b32 v[0:1], v3, off
	global_load_b32 v5, v[15:16], off offset:3816
	v_add_nc_u32_e32 v3, 0xe00, v64
	ds_load_2addr_b32 v[3:4], v3 offset0:58 offset1:202
	s_wait_dscnt 0x0
	v_lshrrev_b32_e32 v6, 16, v3
	s_wait_loadcnt 0x0
	v_lshrrev_b32_e32 v7, 16, v5
	s_delay_alu instid0(VALU_DEP_1) | instskip(SKIP_1) | instid1(VALU_DEP_2)
	v_mul_f16_e32 v8, v6, v7
	v_mul_f16_e32 v7, v3, v7
	v_fmac_f16_e32 v8, v3, v5
	s_delay_alu instid0(VALU_DEP_2) | instskip(NEXT) | instid1(VALU_DEP_2)
	v_fma_f16 v3, v5, v6, -v7
	v_cvt_f32_f16_e32 v5, v8
	s_delay_alu instid0(VALU_DEP_2) | instskip(NEXT) | instid1(VALU_DEP_2)
	v_cvt_f32_f16_e32 v3, v3
	v_cvt_f64_f32_e32 v[5:6], v5
	s_delay_alu instid0(VALU_DEP_2) | instskip(NEXT) | instid1(VALU_DEP_2)
	v_cvt_f64_f32_e32 v[7:8], v3
	v_mul_f64_e32 v[5:6], s[12:13], v[5:6]
	s_delay_alu instid0(VALU_DEP_2) | instskip(NEXT) | instid1(VALU_DEP_2)
	v_mul_f64_e32 v[7:8], s[12:13], v[7:8]
	v_and_or_b32 v3, 0x1ff, v6, v5
	s_delay_alu instid0(VALU_DEP_2)
	v_and_or_b32 v7, 0x1ff, v8, v7
	v_lshrrev_b32_e32 v5, 8, v6
	v_bfe_u32 v9, v6, 20, 11
	v_lshrrev_b32_e32 v10, 8, v8
	v_cmp_ne_u32_e32 vcc_lo, 0, v3
	v_bfe_u32 v11, v8, 20, 11
	v_lshrrev_b32_e32 v6, 16, v6
	v_sub_nc_u32_e32 v12, 0x3f1, v9
	v_add_nc_u32_e32 v9, 0xfffffc10, v9
	s_wait_alu 0xfffd
	v_cndmask_b32_e64 v3, 0, 1, vcc_lo
	v_cmp_ne_u32_e32 vcc_lo, 0, v7
	v_lshrrev_b32_e32 v8, 16, v8
	s_delay_alu instid0(VALU_DEP_3) | instskip(SKIP_4) | instid1(VALU_DEP_3)
	v_and_or_b32 v3, 0xffe, v5, v3
	s_wait_alu 0xfffd
	v_cndmask_b32_e64 v7, 0, 1, vcc_lo
	v_sub_nc_u32_e32 v5, 0x3f1, v11
	v_add_nc_u32_e32 v11, 0xfffffc10, v11
	v_and_or_b32 v7, 0xffe, v10, v7
	v_med3_i32 v10, v12, 0, 13
	v_or_b32_e32 v12, 0x1000, v3
	v_med3_i32 v5, v5, 0, 13
	s_delay_alu instid0(VALU_DEP_4) | instskip(NEXT) | instid1(VALU_DEP_3)
	v_or_b32_e32 v13, 0x1000, v7
	v_lshrrev_b32_e32 v14, v10, v12
	s_delay_alu instid0(VALU_DEP_2) | instskip(NEXT) | instid1(VALU_DEP_2)
	v_lshrrev_b32_e32 v17, v5, v13
	v_lshlrev_b32_e32 v10, v10, v14
	s_delay_alu instid0(VALU_DEP_2) | instskip(NEXT) | instid1(VALU_DEP_2)
	v_lshlrev_b32_e32 v5, v5, v17
	v_cmp_ne_u32_e32 vcc_lo, v10, v12
	v_lshl_or_b32 v12, v9, 12, v3
	s_wait_alu 0xfffd
	v_cndmask_b32_e64 v10, 0, 1, vcc_lo
	v_cmp_ne_u32_e32 vcc_lo, v5, v13
	v_lshl_or_b32 v13, v11, 12, v7
	s_delay_alu instid0(VALU_DEP_3) | instskip(SKIP_3) | instid1(VALU_DEP_2)
	v_or_b32_e32 v10, v14, v10
	s_wait_alu 0xfffd
	v_cndmask_b32_e64 v5, 0, 1, vcc_lo
	v_cmp_gt_i32_e32 vcc_lo, 1, v9
	v_or_b32_e32 v5, v17, v5
	s_wait_alu 0xfffd
	v_cndmask_b32_e32 v10, v12, v10, vcc_lo
	v_cmp_gt_i32_e32 vcc_lo, 1, v11
	s_wait_alu 0xfffd
	s_delay_alu instid0(VALU_DEP_2) | instskip(SKIP_2) | instid1(VALU_DEP_3)
	v_dual_cndmask_b32 v5, v13, v5 :: v_dual_and_b32 v12, 7, v10
	v_cmp_ne_u32_e32 vcc_lo, 0, v3
	v_lshrrev_b32_e32 v10, 2, v10
	v_cmp_eq_u32_e64 s0, 3, v12
	s_delay_alu instid0(VALU_DEP_4)
	v_and_b32_e32 v13, 7, v5
	s_wait_alu 0xfffd
	v_cndmask_b32_e64 v3, 0, 1, vcc_lo
	v_cmp_ne_u32_e32 vcc_lo, 0, v7
	v_lshrrev_b32_e32 v5, 2, v5
	v_cmp_lt_i32_e64 s1, 5, v13
	v_cmp_eq_u32_e64 s2, 3, v13
	s_wait_alu 0xfffd
	v_cndmask_b32_e64 v7, 0, 1, vcc_lo
	v_cmp_lt_i32_e32 vcc_lo, 5, v12
	v_lshl_or_b32 v3, v3, 9, 0x7c00
	s_delay_alu instid0(VALU_DEP_3)
	v_lshl_or_b32 v7, v7, 9, 0x7c00
	s_or_b32 vcc_lo, s0, vcc_lo
	s_wait_alu 0xfffe
	v_add_co_ci_u32_e32 v10, vcc_lo, 0, v10, vcc_lo
	s_or_b32 vcc_lo, s2, s1
	s_wait_alu 0xfffe
	v_add_co_ci_u32_e32 v5, vcc_lo, 0, v5, vcc_lo
	v_cmp_gt_i32_e32 vcc_lo, 31, v9
	s_wait_alu 0xfffd
	v_cndmask_b32_e32 v10, 0x7c00, v10, vcc_lo
	v_cmp_gt_i32_e32 vcc_lo, 31, v11
	s_wait_alu 0xfffd
	v_cndmask_b32_e32 v5, 0x7c00, v5, vcc_lo
	v_cmp_eq_u32_e32 vcc_lo, 0x40f, v9
	s_wait_alu 0xfffd
	v_cndmask_b32_e32 v3, v10, v3, vcc_lo
	v_cmp_eq_u32_e32 vcc_lo, 0x40f, v11
	s_delay_alu instid0(VALU_DEP_2)
	v_and_or_b32 v3, 0x8000, v6, v3
	s_wait_alu 0xfffd
	v_cndmask_b32_e32 v5, v5, v7, vcc_lo
	v_add_co_u32 v0, vcc_lo, v0, s4
	s_wait_alu 0xfffd
	v_add_co_ci_u32_e32 v1, vcc_lo, s5, v1, vcc_lo
	s_delay_alu instid0(VALU_DEP_3) | instskip(SKIP_1) | instid1(VALU_DEP_1)
	v_and_or_b32 v5, 0x8000, v8, v5
	v_and_b32_e32 v3, 0xffff, v3
	v_lshl_or_b32 v3, v5, 16, v3
	v_lshrrev_b32_e32 v5, 16, v4
	global_store_b32 v[0:1], v3, off
	global_load_b32 v3, v[15:16], off offset:4392
	s_wait_loadcnt 0x0
	v_lshrrev_b32_e32 v6, 16, v3
	s_delay_alu instid0(VALU_DEP_1) | instskip(SKIP_1) | instid1(VALU_DEP_2)
	v_mul_f16_e32 v7, v5, v6
	v_mul_f16_e32 v6, v4, v6
	v_fmac_f16_e32 v7, v4, v3
	s_delay_alu instid0(VALU_DEP_2) | instskip(NEXT) | instid1(VALU_DEP_2)
	v_fma_f16 v3, v3, v5, -v6
	v_cvt_f32_f16_e32 v4, v7
	s_delay_alu instid0(VALU_DEP_2) | instskip(NEXT) | instid1(VALU_DEP_2)
	v_cvt_f32_f16_e32 v5, v3
	v_cvt_f64_f32_e32 v[3:4], v4
	s_delay_alu instid0(VALU_DEP_2) | instskip(NEXT) | instid1(VALU_DEP_2)
	v_cvt_f64_f32_e32 v[5:6], v5
	v_mul_f64_e32 v[3:4], s[12:13], v[3:4]
	s_delay_alu instid0(VALU_DEP_2) | instskip(NEXT) | instid1(VALU_DEP_2)
	v_mul_f64_e32 v[5:6], s[12:13], v[5:6]
	v_and_or_b32 v3, 0x1ff, v4, v3
	s_delay_alu instid0(VALU_DEP_2)
	v_and_or_b32 v5, 0x1ff, v6, v5
	v_lshrrev_b32_e32 v7, 8, v4
	v_bfe_u32 v8, v4, 20, 11
	v_lshrrev_b32_e32 v9, 8, v6
	v_cmp_ne_u32_e32 vcc_lo, 0, v3
	v_bfe_u32 v10, v6, 20, 11
	v_lshrrev_b32_e32 v4, 16, v4
	v_sub_nc_u32_e32 v11, 0x3f1, v8
	v_add_nc_u32_e32 v8, 0xfffffc10, v8
	s_wait_alu 0xfffd
	v_cndmask_b32_e64 v3, 0, 1, vcc_lo
	v_cmp_ne_u32_e32 vcc_lo, 0, v5
	v_lshrrev_b32_e32 v6, 16, v6
	s_delay_alu instid0(VALU_DEP_3) | instskip(SKIP_4) | instid1(VALU_DEP_3)
	v_and_or_b32 v3, 0xffe, v7, v3
	s_wait_alu 0xfffd
	v_cndmask_b32_e64 v5, 0, 1, vcc_lo
	v_sub_nc_u32_e32 v7, 0x3f1, v10
	v_add_nc_u32_e32 v10, 0xfffffc10, v10
	v_and_or_b32 v5, 0xffe, v9, v5
	v_med3_i32 v9, v11, 0, 13
	v_or_b32_e32 v11, 0x1000, v3
	v_med3_i32 v7, v7, 0, 13
	s_delay_alu instid0(VALU_DEP_4) | instskip(NEXT) | instid1(VALU_DEP_3)
	v_or_b32_e32 v12, 0x1000, v5
	v_lshrrev_b32_e32 v13, v9, v11
	s_delay_alu instid0(VALU_DEP_2) | instskip(NEXT) | instid1(VALU_DEP_2)
	v_lshrrev_b32_e32 v14, v7, v12
	v_lshlrev_b32_e32 v9, v9, v13
	s_delay_alu instid0(VALU_DEP_2) | instskip(NEXT) | instid1(VALU_DEP_2)
	v_lshlrev_b32_e32 v7, v7, v14
	v_cmp_ne_u32_e32 vcc_lo, v9, v11
	v_lshl_or_b32 v11, v8, 12, v3
	s_wait_alu 0xfffd
	v_cndmask_b32_e64 v9, 0, 1, vcc_lo
	v_cmp_ne_u32_e32 vcc_lo, v7, v12
	v_lshl_or_b32 v12, v10, 12, v5
	s_delay_alu instid0(VALU_DEP_3) | instskip(SKIP_3) | instid1(VALU_DEP_2)
	v_or_b32_e32 v9, v13, v9
	s_wait_alu 0xfffd
	v_cndmask_b32_e64 v7, 0, 1, vcc_lo
	v_cmp_gt_i32_e32 vcc_lo, 1, v8
	v_or_b32_e32 v7, v14, v7
	s_wait_alu 0xfffd
	v_cndmask_b32_e32 v9, v11, v9, vcc_lo
	v_cmp_gt_i32_e32 vcc_lo, 1, v10
	s_delay_alu instid0(VALU_DEP_2)
	v_and_b32_e32 v11, 7, v9
	s_wait_alu 0xfffd
	v_cndmask_b32_e32 v7, v12, v7, vcc_lo
	v_cmp_ne_u32_e32 vcc_lo, 0, v3
	v_lshrrev_b32_e32 v9, 2, v9
	v_cmp_eq_u32_e64 s0, 3, v11
	s_delay_alu instid0(VALU_DEP_4)
	v_and_b32_e32 v12, 7, v7
	s_wait_alu 0xfffd
	v_cndmask_b32_e64 v3, 0, 1, vcc_lo
	v_cmp_ne_u32_e32 vcc_lo, 0, v5
	v_lshrrev_b32_e32 v7, 2, v7
	v_cmp_lt_i32_e64 s1, 5, v12
	v_cmp_eq_u32_e64 s2, 3, v12
	s_wait_alu 0xfffd
	v_cndmask_b32_e64 v5, 0, 1, vcc_lo
	v_cmp_lt_i32_e32 vcc_lo, 5, v11
	v_lshl_or_b32 v3, v3, 9, 0x7c00
	s_delay_alu instid0(VALU_DEP_3)
	v_lshl_or_b32 v5, v5, 9, 0x7c00
	s_or_b32 vcc_lo, s0, vcc_lo
	s_wait_alu 0xfffe
	v_add_co_ci_u32_e32 v9, vcc_lo, 0, v9, vcc_lo
	s_or_b32 vcc_lo, s2, s1
	s_wait_alu 0xfffe
	v_add_co_ci_u32_e32 v7, vcc_lo, 0, v7, vcc_lo
	v_cmp_gt_i32_e32 vcc_lo, 31, v8
	s_wait_alu 0xfffd
	v_cndmask_b32_e32 v9, 0x7c00, v9, vcc_lo
	v_cmp_gt_i32_e32 vcc_lo, 31, v10
	s_wait_alu 0xfffd
	v_cndmask_b32_e32 v7, 0x7c00, v7, vcc_lo
	v_cmp_eq_u32_e32 vcc_lo, 0x40f, v8
	s_wait_alu 0xfffd
	v_cndmask_b32_e32 v3, v9, v3, vcc_lo
	v_cmp_eq_u32_e32 vcc_lo, 0x40f, v10
	s_delay_alu instid0(VALU_DEP_2)
	v_and_or_b32 v3, 0x8000, v4, v3
	s_wait_alu 0xfffd
	v_cndmask_b32_e32 v5, v7, v5, vcc_lo
	v_add_co_u32 v0, vcc_lo, v0, s4
	s_wait_alu 0xfffd
	v_add_co_ci_u32_e32 v1, vcc_lo, s5, v1, vcc_lo
	s_delay_alu instid0(VALU_DEP_3) | instskip(SKIP_1) | instid1(VALU_DEP_1)
	v_and_or_b32 v4, 0x8000, v6, v5
	v_and_b32_e32 v3, 0xffff, v3
	v_lshl_or_b32 v3, v4, 16, v3
	global_store_b32 v[0:1], v3, off
	global_load_b32 v4, v[15:16], off offset:4968
	ds_load_2addr_b32 v[2:3], v2 offset0:90 offset1:234
	s_wait_dscnt 0x0
	v_lshrrev_b32_e32 v5, 16, v2
	s_wait_loadcnt 0x0
	v_lshrrev_b32_e32 v6, 16, v4
	s_delay_alu instid0(VALU_DEP_1) | instskip(SKIP_1) | instid1(VALU_DEP_2)
	v_mul_f16_e32 v7, v5, v6
	v_mul_f16_e32 v6, v2, v6
	v_fmac_f16_e32 v7, v2, v4
	s_delay_alu instid0(VALU_DEP_2) | instskip(NEXT) | instid1(VALU_DEP_2)
	v_fma_f16 v2, v4, v5, -v6
	v_cvt_f32_f16_e32 v4, v7
	s_delay_alu instid0(VALU_DEP_2) | instskip(NEXT) | instid1(VALU_DEP_2)
	v_cvt_f32_f16_e32 v2, v2
	v_cvt_f64_f32_e32 v[4:5], v4
	s_delay_alu instid0(VALU_DEP_2) | instskip(NEXT) | instid1(VALU_DEP_2)
	v_cvt_f64_f32_e32 v[6:7], v2
	v_mul_f64_e32 v[4:5], s[12:13], v[4:5]
	s_delay_alu instid0(VALU_DEP_2) | instskip(NEXT) | instid1(VALU_DEP_2)
	v_mul_f64_e32 v[6:7], s[12:13], v[6:7]
	v_and_or_b32 v2, 0x1ff, v5, v4
	s_delay_alu instid0(VALU_DEP_2)
	v_and_or_b32 v6, 0x1ff, v7, v6
	v_lshrrev_b32_e32 v4, 8, v5
	v_bfe_u32 v8, v5, 20, 11
	v_lshrrev_b32_e32 v9, 8, v7
	v_cmp_ne_u32_e32 vcc_lo, 0, v2
	v_bfe_u32 v10, v7, 20, 11
	v_lshrrev_b32_e32 v5, 16, v5
	v_sub_nc_u32_e32 v11, 0x3f1, v8
	v_add_nc_u32_e32 v8, 0xfffffc10, v8
	s_wait_alu 0xfffd
	v_cndmask_b32_e64 v2, 0, 1, vcc_lo
	v_cmp_ne_u32_e32 vcc_lo, 0, v6
	v_lshrrev_b32_e32 v7, 16, v7
	s_delay_alu instid0(VALU_DEP_3) | instskip(SKIP_4) | instid1(VALU_DEP_3)
	v_and_or_b32 v2, 0xffe, v4, v2
	s_wait_alu 0xfffd
	v_cndmask_b32_e64 v6, 0, 1, vcc_lo
	v_sub_nc_u32_e32 v4, 0x3f1, v10
	v_add_nc_u32_e32 v10, 0xfffffc10, v10
	v_and_or_b32 v6, 0xffe, v9, v6
	v_med3_i32 v9, v11, 0, 13
	v_or_b32_e32 v11, 0x1000, v2
	v_med3_i32 v4, v4, 0, 13
	s_delay_alu instid0(VALU_DEP_4) | instskip(NEXT) | instid1(VALU_DEP_3)
	v_or_b32_e32 v12, 0x1000, v6
	v_lshrrev_b32_e32 v13, v9, v11
	s_delay_alu instid0(VALU_DEP_2) | instskip(NEXT) | instid1(VALU_DEP_2)
	v_lshrrev_b32_e32 v14, v4, v12
	v_lshlrev_b32_e32 v9, v9, v13
	s_delay_alu instid0(VALU_DEP_2) | instskip(NEXT) | instid1(VALU_DEP_2)
	v_lshlrev_b32_e32 v4, v4, v14
	v_cmp_ne_u32_e32 vcc_lo, v9, v11
	v_lshl_or_b32 v11, v8, 12, v2
	s_wait_alu 0xfffd
	v_cndmask_b32_e64 v9, 0, 1, vcc_lo
	v_cmp_ne_u32_e32 vcc_lo, v4, v12
	v_lshl_or_b32 v12, v10, 12, v6
	s_delay_alu instid0(VALU_DEP_3) | instskip(SKIP_3) | instid1(VALU_DEP_2)
	v_or_b32_e32 v9, v13, v9
	s_wait_alu 0xfffd
	v_cndmask_b32_e64 v4, 0, 1, vcc_lo
	v_cmp_gt_i32_e32 vcc_lo, 1, v8
	v_or_b32_e32 v4, v14, v4
	s_wait_alu 0xfffd
	v_cndmask_b32_e32 v9, v11, v9, vcc_lo
	v_cmp_gt_i32_e32 vcc_lo, 1, v10
	s_wait_alu 0xfffd
	s_delay_alu instid0(VALU_DEP_2) | instskip(SKIP_2) | instid1(VALU_DEP_3)
	v_dual_cndmask_b32 v4, v12, v4 :: v_dual_and_b32 v11, 7, v9
	v_cmp_ne_u32_e32 vcc_lo, 0, v2
	v_lshrrev_b32_e32 v9, 2, v9
	v_cmp_eq_u32_e64 s0, 3, v11
	s_delay_alu instid0(VALU_DEP_4)
	v_and_b32_e32 v12, 7, v4
	s_wait_alu 0xfffd
	v_cndmask_b32_e64 v2, 0, 1, vcc_lo
	v_cmp_ne_u32_e32 vcc_lo, 0, v6
	v_lshrrev_b32_e32 v4, 2, v4
	v_cmp_lt_i32_e64 s1, 5, v12
	v_cmp_eq_u32_e64 s2, 3, v12
	s_wait_alu 0xfffd
	v_cndmask_b32_e64 v6, 0, 1, vcc_lo
	v_cmp_lt_i32_e32 vcc_lo, 5, v11
	v_lshl_or_b32 v2, v2, 9, 0x7c00
	s_delay_alu instid0(VALU_DEP_3)
	v_lshl_or_b32 v6, v6, 9, 0x7c00
	s_or_b32 vcc_lo, s0, vcc_lo
	s_wait_alu 0xfffe
	v_add_co_ci_u32_e32 v9, vcc_lo, 0, v9, vcc_lo
	s_or_b32 vcc_lo, s2, s1
	s_wait_alu 0xfffe
	v_add_co_ci_u32_e32 v4, vcc_lo, 0, v4, vcc_lo
	v_cmp_gt_i32_e32 vcc_lo, 31, v8
	s_wait_alu 0xfffd
	v_cndmask_b32_e32 v9, 0x7c00, v9, vcc_lo
	v_cmp_gt_i32_e32 vcc_lo, 31, v10
	s_wait_alu 0xfffd
	v_cndmask_b32_e32 v4, 0x7c00, v4, vcc_lo
	v_cmp_eq_u32_e32 vcc_lo, 0x40f, v8
	s_wait_alu 0xfffd
	v_cndmask_b32_e32 v2, v9, v2, vcc_lo
	v_cmp_eq_u32_e32 vcc_lo, 0x40f, v10
	s_delay_alu instid0(VALU_DEP_2)
	v_and_or_b32 v2, 0x8000, v5, v2
	s_wait_alu 0xfffd
	v_cndmask_b32_e32 v4, v4, v6, vcc_lo
	v_add_co_u32 v0, vcc_lo, v0, s4
	s_wait_alu 0xfffd
	v_add_co_ci_u32_e32 v1, vcc_lo, s5, v1, vcc_lo
	s_delay_alu instid0(VALU_DEP_3) | instskip(SKIP_1) | instid1(VALU_DEP_1)
	v_and_or_b32 v4, 0x8000, v7, v4
	v_and_b32_e32 v2, 0xffff, v2
	v_lshl_or_b32 v2, v4, 16, v2
	v_lshrrev_b32_e32 v4, 16, v3
	global_store_b32 v[0:1], v2, off
	global_load_b32 v2, v[15:16], off offset:5544
	s_wait_loadcnt 0x0
	v_lshrrev_b32_e32 v5, 16, v2
	s_delay_alu instid0(VALU_DEP_1) | instskip(SKIP_1) | instid1(VALU_DEP_2)
	v_mul_f16_e32 v6, v4, v5
	v_mul_f16_e32 v5, v3, v5
	v_fmac_f16_e32 v6, v3, v2
	s_delay_alu instid0(VALU_DEP_2) | instskip(NEXT) | instid1(VALU_DEP_2)
	v_fma_f16 v2, v2, v4, -v5
	v_cvt_f32_f16_e32 v3, v6
	s_delay_alu instid0(VALU_DEP_2) | instskip(NEXT) | instid1(VALU_DEP_2)
	v_cvt_f32_f16_e32 v4, v2
	v_cvt_f64_f32_e32 v[2:3], v3
	s_delay_alu instid0(VALU_DEP_2) | instskip(NEXT) | instid1(VALU_DEP_2)
	v_cvt_f64_f32_e32 v[4:5], v4
	v_mul_f64_e32 v[2:3], s[12:13], v[2:3]
	s_delay_alu instid0(VALU_DEP_2) | instskip(NEXT) | instid1(VALU_DEP_2)
	v_mul_f64_e32 v[4:5], s[12:13], v[4:5]
	v_and_or_b32 v2, 0x1ff, v3, v2
	s_delay_alu instid0(VALU_DEP_2)
	v_and_or_b32 v4, 0x1ff, v5, v4
	v_lshrrev_b32_e32 v6, 8, v3
	v_bfe_u32 v7, v3, 20, 11
	v_lshrrev_b32_e32 v8, 8, v5
	v_cmp_ne_u32_e32 vcc_lo, 0, v2
	v_bfe_u32 v9, v5, 20, 11
	v_lshrrev_b32_e32 v3, 16, v3
	v_sub_nc_u32_e32 v10, 0x3f1, v7
	v_add_nc_u32_e32 v7, 0xfffffc10, v7
	s_wait_alu 0xfffd
	v_cndmask_b32_e64 v2, 0, 1, vcc_lo
	v_cmp_ne_u32_e32 vcc_lo, 0, v4
	v_lshrrev_b32_e32 v5, 16, v5
	s_delay_alu instid0(VALU_DEP_3) | instskip(SKIP_4) | instid1(VALU_DEP_3)
	v_and_or_b32 v2, 0xffe, v6, v2
	s_wait_alu 0xfffd
	v_cndmask_b32_e64 v4, 0, 1, vcc_lo
	v_sub_nc_u32_e32 v6, 0x3f1, v9
	v_add_nc_u32_e32 v9, 0xfffffc10, v9
	v_and_or_b32 v4, 0xffe, v8, v4
	v_med3_i32 v8, v10, 0, 13
	v_or_b32_e32 v10, 0x1000, v2
	v_med3_i32 v6, v6, 0, 13
	s_delay_alu instid0(VALU_DEP_4) | instskip(NEXT) | instid1(VALU_DEP_3)
	v_or_b32_e32 v11, 0x1000, v4
	v_lshrrev_b32_e32 v12, v8, v10
	s_delay_alu instid0(VALU_DEP_2) | instskip(NEXT) | instid1(VALU_DEP_2)
	v_lshrrev_b32_e32 v13, v6, v11
	v_lshlrev_b32_e32 v8, v8, v12
	s_delay_alu instid0(VALU_DEP_2) | instskip(NEXT) | instid1(VALU_DEP_2)
	v_lshlrev_b32_e32 v6, v6, v13
	v_cmp_ne_u32_e32 vcc_lo, v8, v10
	v_lshl_or_b32 v10, v7, 12, v2
	s_wait_alu 0xfffd
	v_cndmask_b32_e64 v8, 0, 1, vcc_lo
	v_cmp_ne_u32_e32 vcc_lo, v6, v11
	v_lshl_or_b32 v11, v9, 12, v4
	s_delay_alu instid0(VALU_DEP_3) | instskip(SKIP_3) | instid1(VALU_DEP_2)
	v_or_b32_e32 v8, v12, v8
	s_wait_alu 0xfffd
	v_cndmask_b32_e64 v6, 0, 1, vcc_lo
	v_cmp_gt_i32_e32 vcc_lo, 1, v7
	v_or_b32_e32 v6, v13, v6
	s_wait_alu 0xfffd
	v_cndmask_b32_e32 v8, v10, v8, vcc_lo
	v_cmp_gt_i32_e32 vcc_lo, 1, v9
	s_delay_alu instid0(VALU_DEP_2)
	v_and_b32_e32 v10, 7, v8
	s_wait_alu 0xfffd
	v_cndmask_b32_e32 v6, v11, v6, vcc_lo
	v_cmp_ne_u32_e32 vcc_lo, 0, v2
	v_lshrrev_b32_e32 v8, 2, v8
	v_cmp_eq_u32_e64 s0, 3, v10
	s_delay_alu instid0(VALU_DEP_4)
	v_and_b32_e32 v11, 7, v6
	s_wait_alu 0xfffd
	v_cndmask_b32_e64 v2, 0, 1, vcc_lo
	v_cmp_ne_u32_e32 vcc_lo, 0, v4
	v_lshrrev_b32_e32 v6, 2, v6
	v_cmp_lt_i32_e64 s1, 5, v11
	v_cmp_eq_u32_e64 s2, 3, v11
	s_wait_alu 0xfffd
	v_cndmask_b32_e64 v4, 0, 1, vcc_lo
	v_cmp_lt_i32_e32 vcc_lo, 5, v10
	v_lshl_or_b32 v2, v2, 9, 0x7c00
	s_delay_alu instid0(VALU_DEP_3)
	v_lshl_or_b32 v4, v4, 9, 0x7c00
	s_or_b32 vcc_lo, s0, vcc_lo
	s_wait_alu 0xfffe
	v_add_co_ci_u32_e32 v8, vcc_lo, 0, v8, vcc_lo
	s_or_b32 vcc_lo, s2, s1
	s_wait_alu 0xfffe
	v_add_co_ci_u32_e32 v6, vcc_lo, 0, v6, vcc_lo
	v_cmp_gt_i32_e32 vcc_lo, 31, v7
	s_wait_alu 0xfffd
	v_cndmask_b32_e32 v8, 0x7c00, v8, vcc_lo
	v_cmp_gt_i32_e32 vcc_lo, 31, v9
	s_wait_alu 0xfffd
	v_cndmask_b32_e32 v6, 0x7c00, v6, vcc_lo
	v_cmp_eq_u32_e32 vcc_lo, 0x40f, v7
	s_wait_alu 0xfffd
	v_cndmask_b32_e32 v2, v8, v2, vcc_lo
	v_cmp_eq_u32_e32 vcc_lo, 0x40f, v9
	s_delay_alu instid0(VALU_DEP_2)
	v_and_or_b32 v2, 0x8000, v3, v2
	s_wait_alu 0xfffd
	v_cndmask_b32_e32 v4, v6, v4, vcc_lo
	v_add_co_u32 v0, vcc_lo, v0, s4
	s_wait_alu 0xfffd
	v_add_co_ci_u32_e32 v1, vcc_lo, s5, v1, vcc_lo
	v_and_b32_e32 v2, 0xffff, v2
	v_and_or_b32 v3, 0x8000, v5, v4
	s_delay_alu instid0(VALU_DEP_1)
	v_lshl_or_b32 v2, v3, 16, v2
	global_store_b32 v[0:1], v2, off
.LBB0_31:
	s_nop 0
	s_sendmsg sendmsg(MSG_DEALLOC_VGPRS)
	s_endpgm
	.section	.rodata,"a",@progbits
	.p2align	6, 0x0
	.amdhsa_kernel bluestein_single_fwd_len1440_dim1_half_op_CI_CI
		.amdhsa_group_segment_fixed_size 5760
		.amdhsa_private_segment_fixed_size 0
		.amdhsa_kernarg_size 104
		.amdhsa_user_sgpr_count 2
		.amdhsa_user_sgpr_dispatch_ptr 0
		.amdhsa_user_sgpr_queue_ptr 0
		.amdhsa_user_sgpr_kernarg_segment_ptr 1
		.amdhsa_user_sgpr_dispatch_id 0
		.amdhsa_user_sgpr_private_segment_size 0
		.amdhsa_wavefront_size32 1
		.amdhsa_uses_dynamic_stack 0
		.amdhsa_enable_private_segment 0
		.amdhsa_system_sgpr_workgroup_id_x 1
		.amdhsa_system_sgpr_workgroup_id_y 0
		.amdhsa_system_sgpr_workgroup_id_z 0
		.amdhsa_system_sgpr_workgroup_info 0
		.amdhsa_system_vgpr_workitem_id 0
		.amdhsa_next_free_vgpr 190
		.amdhsa_next_free_sgpr 16
		.amdhsa_reserve_vcc 1
		.amdhsa_float_round_mode_32 0
		.amdhsa_float_round_mode_16_64 0
		.amdhsa_float_denorm_mode_32 3
		.amdhsa_float_denorm_mode_16_64 3
		.amdhsa_fp16_overflow 0
		.amdhsa_workgroup_processor_mode 1
		.amdhsa_memory_ordered 1
		.amdhsa_forward_progress 0
		.amdhsa_round_robin_scheduling 0
		.amdhsa_exception_fp_ieee_invalid_op 0
		.amdhsa_exception_fp_denorm_src 0
		.amdhsa_exception_fp_ieee_div_zero 0
		.amdhsa_exception_fp_ieee_overflow 0
		.amdhsa_exception_fp_ieee_underflow 0
		.amdhsa_exception_fp_ieee_inexact 0
		.amdhsa_exception_int_div_zero 0
	.end_amdhsa_kernel
	.text
.Lfunc_end0:
	.size	bluestein_single_fwd_len1440_dim1_half_op_CI_CI, .Lfunc_end0-bluestein_single_fwd_len1440_dim1_half_op_CI_CI
                                        ; -- End function
	.section	.AMDGPU.csdata,"",@progbits
; Kernel info:
; codeLenInByte = 34020
; NumSgprs: 18
; NumVgprs: 190
; ScratchSize: 0
; MemoryBound: 0
; FloatMode: 240
; IeeeMode: 1
; LDSByteSize: 5760 bytes/workgroup (compile time only)
; SGPRBlocks: 2
; VGPRBlocks: 23
; NumSGPRsForWavesPerEU: 18
; NumVGPRsForWavesPerEU: 190
; Occupancy: 8
; WaveLimiterHint : 1
; COMPUTE_PGM_RSRC2:SCRATCH_EN: 0
; COMPUTE_PGM_RSRC2:USER_SGPR: 2
; COMPUTE_PGM_RSRC2:TRAP_HANDLER: 0
; COMPUTE_PGM_RSRC2:TGID_X_EN: 1
; COMPUTE_PGM_RSRC2:TGID_Y_EN: 0
; COMPUTE_PGM_RSRC2:TGID_Z_EN: 0
; COMPUTE_PGM_RSRC2:TIDIG_COMP_CNT: 0
	.text
	.p2alignl 7, 3214868480
	.fill 96, 4, 3214868480
	.type	__hip_cuid_74872e3bdb00121,@object ; @__hip_cuid_74872e3bdb00121
	.section	.bss,"aw",@nobits
	.globl	__hip_cuid_74872e3bdb00121
__hip_cuid_74872e3bdb00121:
	.byte	0                               ; 0x0
	.size	__hip_cuid_74872e3bdb00121, 1

	.ident	"AMD clang version 19.0.0git (https://github.com/RadeonOpenCompute/llvm-project roc-6.4.0 25133 c7fe45cf4b819c5991fe208aaa96edf142730f1d)"
	.section	".note.GNU-stack","",@progbits
	.addrsig
	.addrsig_sym __hip_cuid_74872e3bdb00121
	.amdgpu_metadata
---
amdhsa.kernels:
  - .args:
      - .actual_access:  read_only
        .address_space:  global
        .offset:         0
        .size:           8
        .value_kind:     global_buffer
      - .actual_access:  read_only
        .address_space:  global
        .offset:         8
        .size:           8
        .value_kind:     global_buffer
      - .actual_access:  read_only
        .address_space:  global
        .offset:         16
        .size:           8
        .value_kind:     global_buffer
      - .actual_access:  read_only
        .address_space:  global
        .offset:         24
        .size:           8
        .value_kind:     global_buffer
      - .actual_access:  read_only
        .address_space:  global
        .offset:         32
        .size:           8
        .value_kind:     global_buffer
      - .offset:         40
        .size:           8
        .value_kind:     by_value
      - .address_space:  global
        .offset:         48
        .size:           8
        .value_kind:     global_buffer
      - .address_space:  global
        .offset:         56
        .size:           8
        .value_kind:     global_buffer
      - .address_space:  global
        .offset:         64
        .size:           8
        .value_kind:     global_buffer
      - .address_space:  global
        .offset:         72
        .size:           8
        .value_kind:     global_buffer
      - .offset:         80
        .size:           4
        .value_kind:     by_value
      - .address_space:  global
        .offset:         88
        .size:           8
        .value_kind:     global_buffer
      - .address_space:  global
        .offset:         96
        .size:           8
        .value_kind:     global_buffer
    .group_segment_fixed_size: 5760
    .kernarg_segment_align: 8
    .kernarg_segment_size: 104
    .language:       OpenCL C
    .language_version:
      - 2
      - 0
    .max_flat_workgroup_size: 90
    .name:           bluestein_single_fwd_len1440_dim1_half_op_CI_CI
    .private_segment_fixed_size: 0
    .sgpr_count:     18
    .sgpr_spill_count: 0
    .symbol:         bluestein_single_fwd_len1440_dim1_half_op_CI_CI.kd
    .uniform_work_group_size: 1
    .uses_dynamic_stack: false
    .vgpr_count:     190
    .vgpr_spill_count: 0
    .wavefront_size: 32
    .workgroup_processor_mode: 1
amdhsa.target:   amdgcn-amd-amdhsa--gfx1201
amdhsa.version:
  - 1
  - 2
...

	.end_amdgpu_metadata
